;; amdgpu-corpus repo=ROCm/rocFFT kind=compiled arch=gfx950 opt=O3
	.text
	.amdgcn_target "amdgcn-amd-amdhsa--gfx950"
	.amdhsa_code_object_version 6
	.protected	bluestein_single_fwd_len1071_dim1_sp_op_CI_CI ; -- Begin function bluestein_single_fwd_len1071_dim1_sp_op_CI_CI
	.globl	bluestein_single_fwd_len1071_dim1_sp_op_CI_CI
	.p2align	8
	.type	bluestein_single_fwd_len1071_dim1_sp_op_CI_CI,@function
bluestein_single_fwd_len1071_dim1_sp_op_CI_CI: ; @bluestein_single_fwd_len1071_dim1_sp_op_CI_CI
; %bb.0:
	s_load_dwordx4 s[4:7], s[0:1], 0x28
	v_mul_u32_u24_e32 v1, 0x227, v0
	v_add_u32_sdwa v2, s2, v1 dst_sel:DWORD dst_unused:UNUSED_PAD src0_sel:DWORD src1_sel:WORD_1
	v_mov_b32_e32 v3, 0
	v_accvgpr_write_b32 a0, v2
	s_waitcnt lgkmcnt(0)
	v_cmp_gt_u64_e32 vcc, s[4:5], v[2:3]
	s_and_saveexec_b64 s[2:3], vcc
	s_cbranch_execz .LBB0_23
; %bb.1:
	s_load_dwordx2 s[12:13], s[0:1], 0x0
	s_load_dwordx2 s[14:15], s[0:1], 0x38
	s_movk_i32 s2, 0x77
	v_mul_lo_u16_sdwa v1, v1, s2 dst_sel:DWORD dst_unused:UNUSED_PAD src0_sel:WORD_1 src1_sel:DWORD
	v_sub_u16_e32 v72, v0, v1
	v_cmp_gt_u16_e64 s[4:5], 63, v72
	v_lshlrev_b32_e32 v84, 3, v72
	s_and_saveexec_b64 s[2:3], s[4:5]
	s_cbranch_execz .LBB0_3
; %bb.2:
	s_load_dwordx2 s[8:9], s[0:1], 0x18
	v_accvgpr_read_b32 v10, a0
	v_mov_b32_e32 v0, s6
	v_mov_b32_e32 v1, s7
	;; [unrolled: 1-line block ×3, first 2 shown]
	s_waitcnt lgkmcnt(0)
	s_load_dwordx4 s[8:11], s[8:9], 0x0
	v_mov_b32_e32 v85, 0
	s_waitcnt lgkmcnt(0)
	v_mad_u64_u32 v[2:3], s[6:7], s10, v10, 0
	v_mad_u64_u32 v[4:5], s[6:7], s8, v72, 0
	v_mov_b32_e32 v6, v3
	v_mov_b32_e32 v8, v5
	v_mad_u64_u32 v[6:7], s[6:7], s11, v10, v[6:7]
	v_mov_b32_e32 v3, v6
	v_mad_u64_u32 v[6:7], s[6:7], s9, v72, v[8:9]
	v_mov_b32_e32 v5, v6
	v_lshl_add_u64 v[0:1], v[2:3], 3, v[0:1]
	v_lshl_add_u64 v[2:3], v[4:5], 3, v[0:1]
	v_mad_u64_u32 v[4:5], s[6:7], s8, v68, v[2:3]
	s_mul_i32 s6, s9, 0x1f8
	s_nop 0
	v_add_u32_e32 v5, s6, v5
	v_mad_u64_u32 v[10:11], s[10:11], s8, v68, v[4:5]
	v_add_u32_e32 v11, s6, v11
	v_mad_u64_u32 v[12:13], s[10:11], s8, v68, v[10:11]
	v_add_u32_e32 v13, s6, v13
	global_load_dwordx2 v[0:1], v[2:3], off
	s_movk_i32 s7, 0x1000
	global_load_dwordx2 v[2:3], v[4:5], off
	global_load_dwordx2 v[14:15], v84, s[12:13]
	global_load_dwordx2 v[8:9], v84, s[12:13] offset:504
	s_nop 0
	global_load_dwordx2 v[4:5], v84, s[12:13] offset:1008
	global_load_dwordx2 v[6:7], v84, s[12:13] offset:1512
	;; [unrolled: 1-line block ×6, first 2 shown]
	global_load_dwordx2 v[24:25], v[10:11], off
	global_load_dwordx2 v[26:27], v84, s[12:13] offset:4032
	global_load_dwordx2 v[28:29], v[12:13], off
	v_mad_u64_u32 v[12:13], s[10:11], s8, v68, v[12:13]
	v_add_u32_e32 v13, s6, v13
	global_load_dwordx2 v[30:31], v[12:13], off
	v_mad_u64_u32 v[12:13], s[10:11], s8, v68, v[12:13]
	v_add_u32_e32 v13, s6, v13
	;; [unrolled: 3-line block ×5, first 2 shown]
	v_lshl_add_u64 v[10:11], s[12:13], 0, v[84:85]
	global_load_dwordx2 v[38:39], v[12:13], off
	v_mad_u64_u32 v[12:13], s[10:11], s8, v68, v[12:13]
	v_add_co_u32_e32 v10, vcc, s7, v10
	v_add_u32_e32 v13, s6, v13
	s_nop 0
	v_addc_co_u32_e32 v11, vcc, 0, v11, vcc
	global_load_dwordx2 v[40:41], v[12:13], off
	global_load_dwordx2 v[42:43], v[10:11], off offset:440
	v_mad_u64_u32 v[12:13], s[10:11], s8, v68, v[12:13]
	v_add_u32_e32 v13, s6, v13
	global_load_dwordx2 v[44:45], v[12:13], off
	global_load_dwordx2 v[46:47], v[10:11], off offset:944
	v_mad_u64_u32 v[12:13], s[10:11], s8, v68, v[12:13]
	v_add_u32_e32 v13, s6, v13
	;; [unrolled: 4-line block ×7, first 2 shown]
	global_load_dwordx2 v[68:69], v[12:13], off
	global_load_dwordx2 v[70:71], v[10:11], off offset:3968
	s_waitcnt vmcnt(31)
	v_mul_f32_e32 v10, v1, v15
	v_mul_f32_e32 v11, v0, v15
	v_fmac_f32_e32 v10, v0, v14
	v_fma_f32 v11, v1, v14, -v11
	s_waitcnt vmcnt(30)
	v_mul_f32_e32 v0, v3, v9
	v_mul_f32_e32 v1, v2, v9
	v_fmac_f32_e32 v0, v2, v8
	v_fma_f32 v1, v3, v8, -v1
	ds_write2_b64 v84, v[10:11], v[0:1] offset1:63
	s_waitcnt vmcnt(23)
	v_mul_f32_e32 v0, v25, v5
	v_mul_f32_e32 v1, v24, v5
	s_waitcnt vmcnt(21)
	v_mul_f32_e32 v2, v29, v7
	v_mul_f32_e32 v3, v28, v7
	v_fmac_f32_e32 v0, v24, v4
	v_fma_f32 v1, v25, v4, -v1
	v_fmac_f32_e32 v2, v28, v6
	v_fma_f32 v3, v29, v6, -v3
	ds_write2_b64 v84, v[0:1], v[2:3] offset0:126 offset1:189
	s_waitcnt vmcnt(20)
	v_mul_f32_e32 v0, v31, v17
	v_mul_f32_e32 v1, v30, v17
	s_waitcnt vmcnt(19)
	v_mul_f32_e32 v2, v33, v19
	v_mul_f32_e32 v3, v32, v19
	v_fmac_f32_e32 v0, v30, v16
	v_fma_f32 v1, v31, v16, -v1
	v_fmac_f32_e32 v2, v32, v18
	v_fma_f32 v3, v33, v18, -v3
	v_add_u32_e32 v4, 0x400, v84
	ds_write2_b64 v4, v[0:1], v[2:3] offset0:124 offset1:187
	s_waitcnt vmcnt(18)
	v_mul_f32_e32 v0, v35, v21
	v_mul_f32_e32 v1, v34, v21
	s_waitcnt vmcnt(17)
	v_mul_f32_e32 v2, v37, v23
	v_mul_f32_e32 v3, v36, v23
	v_fmac_f32_e32 v0, v34, v20
	v_fma_f32 v1, v35, v20, -v1
	v_fmac_f32_e32 v2, v36, v22
	v_fma_f32 v3, v37, v22, -v3
	v_add_u32_e32 v4, 0x800, v84
	;; [unrolled: 12-line block ×6, first 2 shown]
	ds_write2_b64 v4, v[0:1], v[2:3] offset0:114 offset1:177
	s_waitcnt vmcnt(0)
	v_mul_f32_e32 v0, v69, v71
	v_mul_f32_e32 v1, v68, v71
	v_fmac_f32_e32 v0, v68, v70
	v_fma_f32 v1, v69, v70, -v1
	ds_write_b64 v84, v[0:1] offset:8064
.LBB0_3:
	s_or_b64 exec, exec, s[2:3]
	v_accvgpr_write_b32 a1, v72
	v_mov_b32_e32 v4, 0
	v_mov_b32_e32 v5, 0
	s_waitcnt lgkmcnt(0)
	s_barrier
	s_waitcnt lgkmcnt(0)
                                        ; implicit-def: $vgpr10
                                        ; implicit-def: $vgpr16
                                        ; implicit-def: $vgpr14
                                        ; implicit-def: $vgpr24
                                        ; implicit-def: $vgpr22
                                        ; implicit-def: $vgpr34
                                        ; implicit-def: $vgpr28
                                        ; implicit-def: $vgpr36
	s_and_saveexec_b64 s[2:3], s[4:5]
	s_cbranch_execz .LBB0_5
; %bb.4:
	v_add_u32_e32 v0, 0x400, v84
	ds_read2_b64 v[4:7], v84 offset1:63
	ds_read2_b64 v[28:31], v84 offset0:126 offset1:189
	ds_read2_b64 v[20:23], v0 offset0:124 offset1:187
	v_add_u32_e32 v0, 0x800, v84
	ds_read2_b64 v[12:15], v0 offset0:122 offset1:185
	v_add_u32_e32 v0, 0xc00, v84
	ds_read2_b64 v[8:11], v0 offset0:120 offset1:183
	v_add_u32_e32 v0, 0x1000, v84
	ds_read2_b64 v[16:19], v0 offset0:118 offset1:181
	v_add_u32_e32 v0, 0x1400, v84
	ds_read2_b64 v[24:27], v0 offset0:116 offset1:179
	v_add_u32_e32 v0, 0x1800, v84
	ds_read2_b64 v[32:35], v0 offset0:114 offset1:177
	ds_read_b64 v[36:37], v84 offset:8064
.LBB0_5:
	s_or_b64 exec, exec, s[2:3]
	s_waitcnt lgkmcnt(0)
	v_pk_add_f32 v[186:187], v[6:7], v[36:37] neg_lo:[0,1] neg_hi:[0,1]
	s_mov_b32 s18, 0xbf2c7751
	v_pk_add_f32 v[102:103], v[36:37], v[6:7]
	v_pk_add_f32 v[188:189], v[28:29], v[34:35] neg_lo:[0,1] neg_hi:[0,1]
	s_mov_b32 s16, 0x3f3d2fb0
	v_pk_mul_f32 v[0:1], v[186:187], s[18:19] op_sel_hi:[1,0]
	s_mov_b32 s6, 0xbf7ee86f
	v_pk_add_f32 v[118:119], v[34:35], v[28:29]
	v_pk_fma_f32 v[40:41], v[102:103], s[16:17], v[0:1] op_sel:[0,0,1] op_sel_hi:[1,0,0]
	v_pk_fma_f32 v[38:39], v[102:103], s[16:17], v[0:1] op_sel:[0,0,1] op_sel_hi:[1,0,0] neg_lo:[0,0,1] neg_hi:[0,0,1]
	s_mov_b32 s2, 0x3dbcf732
	v_pk_mul_f32 v[0:1], v[188:189], s[6:7] op_sel_hi:[1,0]
	s_mov_b32 s10, 0xbf65296c
	v_pk_fma_f32 v[44:45], v[118:119], s[2:3], v[0:1] op_sel:[0,0,1] op_sel_hi:[1,0,0]
	v_pk_fma_f32 v[42:43], v[118:119], s[2:3], v[0:1] op_sel:[0,0,1] op_sel_hi:[1,0,0] neg_lo:[0,0,1] neg_hi:[0,0,1]
	s_mov_b32 s26, 0xbf4c4adb
	v_mov_b32_e32 v85, v41
	v_mov_b32_e32 v41, v39
	s_mov_b32 s8, 0x3ee437d1
	v_pk_mul_f32 v[0:1], v[186:187], s[10:11] op_sel_hi:[1,0]
	s_mov_b32 s20, 0xbf1a4643
	v_pk_mul_f32 v[2:3], v[188:189], s[26:27] op_sel_hi:[1,0]
	v_pk_add_f32 v[40:41], v[40:41], v[4:5]
	v_accvgpr_write_b32 a3, v45
	v_mov_b32_e32 v45, v43
	v_pk_add_f32 v[40:41], v[44:45], v[40:41]
	v_pk_fma_f32 v[48:49], v[118:119], s[20:21], v[2:3] op_sel:[0,0,1] op_sel_hi:[1,0,0]
	v_pk_fma_f32 v[44:45], v[118:119], s[20:21], v[2:3] op_sel:[0,0,1] op_sel_hi:[1,0,0] neg_lo:[0,0,1] neg_hi:[0,0,1]
	v_pk_fma_f32 v[2:3], v[102:103], s[8:9], v[0:1] op_sel:[0,0,1] op_sel_hi:[1,0,0]
	v_pk_fma_f32 v[46:47], v[102:103], s[8:9], v[0:1] op_sel:[0,0,1] op_sel_hi:[1,0,0] neg_lo:[0,0,1] neg_hi:[0,0,1]
	v_mov_b32_e32 v0, v2
	v_mov_b32_e32 v1, v47
	v_accvgpr_write_b32 a13, v3
	v_pk_add_f32 v[0:1], v[0:1], v[4:5]
	v_mov_b32_e32 v2, v48
	v_mov_b32_e32 v3, v45
	v_pk_add_f32 v[216:217], v[30:31], v[32:33] neg_lo:[0,1] neg_hi:[0,1]
	v_pk_add_f32 v[0:1], v[2:3], v[0:1]
	v_pk_add_f32 v[122:123], v[32:33], v[30:31]
	v_pk_mul_f32 v[2:3], v[216:217], s[26:27] op_sel_hi:[1,0]
	v_mov_b32_e32 v43, v49
	v_pk_fma_f32 v[48:49], v[122:123], s[20:21], v[2:3] op_sel:[0,0,1] op_sel_hi:[1,0,0]
	v_pk_fma_f32 v[56:57], v[122:123], s[20:21], v[2:3] op_sel:[0,0,1] op_sel_hi:[1,0,0] neg_lo:[0,0,1] neg_hi:[0,0,1]
	v_mov_b32_e32 v2, v48
	v_mov_b32_e32 v3, v57
	s_mov_b32 s30, 0x3e3c28d5
	v_pk_add_f32 v[2:3], v[2:3], v[40:41]
	s_mov_b32 s28, 0xbf7ba420
	v_pk_mul_f32 v[40:41], v[216:217], s[30:31] op_sel_hi:[1,0]
	v_accvgpr_write_b32 a5, v49
	v_pk_fma_f32 v[48:49], v[122:123], s[28:29], v[40:41] op_sel:[0,0,1] op_sel_hi:[1,0,0]
	v_pk_fma_f32 v[52:53], v[122:123], s[28:29], v[40:41] op_sel:[0,0,1] op_sel_hi:[1,0,0] neg_lo:[0,0,1] neg_hi:[0,0,1]
	v_mov_b32_e32 v40, v48
	v_mov_b32_e32 v41, v53
	s_mov_b32 s38, 0xbe3c28d5
	v_pk_add_f32 v[194:195], v[20:21], v[26:27] neg_lo:[0,1] neg_hi:[0,1]
	v_pk_add_f32 v[0:1], v[40:41], v[0:1]
	v_pk_add_f32 v[192:193], v[26:27], v[20:21]
	v_pk_mul_f32 v[40:41], v[194:195], s[38:39] op_sel:[1,0] op_sel_hi:[0,0]
	v_mov_b32_e32 v57, v49
	v_pk_fma_f32 v[48:49], v[192:193], s[28:29], v[40:41] op_sel_hi:[1,0,1]
	v_pk_fma_f32 v[66:67], v[192:193], s[28:29], v[40:41] op_sel_hi:[1,0,1] neg_lo:[0,0,1] neg_hi:[0,0,1]
	v_mov_b32_e32 v40, v48
	v_mov_b32_e32 v41, v67
	s_mov_b32 s24, 0x3f763a35
	v_pk_add_f32 v[2:3], v[40:41], v[2:3]
	s_mov_b32 s22, 0xbe8c1d8e
	v_pk_mul_f32 v[40:41], v[194:195], s[24:25] op_sel:[1,0] op_sel_hi:[0,0]
	v_accvgpr_write_b32 a9, v49
	v_pk_fma_f32 v[48:49], v[192:193], s[22:23], v[40:41] op_sel_hi:[1,0,1]
	v_pk_fma_f32 v[62:63], v[192:193], s[22:23], v[40:41] op_sel_hi:[1,0,1] neg_lo:[0,0,1] neg_hi:[0,0,1]
	v_mov_b32_e32 v40, v48
	v_mov_b32_e32 v41, v63
	s_mov_b32 s46, 0x3f06c442
	v_pk_add_f32 v[200:201], v[22:23], v[24:25] neg_lo:[0,1] neg_hi:[0,1]
	v_pk_add_f32 v[0:1], v[40:41], v[0:1]
	s_mov_b32 s34, 0xbf59a7d5
	v_pk_add_f32 v[198:199], v[24:25], v[22:23]
	v_pk_mul_f32 v[40:41], v[200:201], s[46:47] op_sel:[1,0] op_sel_hi:[0,0]
	v_accvgpr_write_b32 a7, v49
	v_pk_fma_f32 v[48:49], v[198:199], s[34:35], v[40:41] op_sel_hi:[1,0,1]
	v_pk_fma_f32 v[78:79], v[198:199], s[34:35], v[40:41] op_sel_hi:[1,0,1] neg_lo:[0,0,1] neg_hi:[0,0,1]
	v_mov_b32_e32 v40, v48
	v_mov_b32_e32 v41, v79
	s_mov_b32 s42, 0x3f2c7751
	v_pk_add_f32 v[2:3], v[40:41], v[2:3]
	v_pk_mul_f32 v[40:41], v[200:201], s[42:43] op_sel:[1,0] op_sel_hi:[0,0]
	v_mov_b32_e32 v63, v49
	v_pk_fma_f32 v[48:49], v[198:199], s[16:17], v[40:41] op_sel_hi:[1,0,1]
	v_pk_fma_f32 v[70:71], v[198:199], s[16:17], v[40:41] op_sel_hi:[1,0,1] neg_lo:[0,0,1] neg_hi:[0,0,1]
	v_mov_b32_e32 v40, v48
	v_mov_b32_e32 v41, v71
	v_pk_add_f32 v[204:205], v[12:13], v[18:19] neg_lo:[0,1] neg_hi:[0,1]
	v_pk_add_f32 v[0:1], v[40:41], v[0:1]
	v_pk_add_f32 v[202:203], v[18:19], v[12:13]
	v_pk_mul_f32 v[40:41], v[204:205], s[24:25] op_sel:[1,0] op_sel_hi:[0,0]
	v_accvgpr_write_b32 a11, v49
	v_pk_fma_f32 v[48:49], v[202:203], s[22:23], v[40:41] op_sel_hi:[1,0,1]
	v_pk_fma_f32 v[94:95], v[202:203], s[22:23], v[40:41] op_sel_hi:[1,0,1] neg_lo:[0,0,1] neg_hi:[0,0,1]
	v_mov_b32_e32 v40, v48
	v_mov_b32_e32 v41, v95
	s_mov_b32 s52, 0xbeb8f4ab
	v_pk_add_f32 v[2:3], v[40:41], v[2:3]
	s_mov_b32 s36, 0x3f6eb680
	v_pk_mul_f32 v[40:41], v[204:205], s[52:53] op_sel:[1,0] op_sel_hi:[0,0]
	v_mov_b32_e32 v71, v49
	v_pk_fma_f32 v[48:49], v[202:203], s[36:37], v[40:41] op_sel_hi:[1,0,1]
	v_pk_fma_f32 v[82:83], v[202:203], s[36:37], v[40:41] op_sel_hi:[1,0,1] neg_lo:[0,0,1] neg_hi:[0,0,1]
	v_mov_b32_e32 v40, v48
	v_mov_b32_e32 v41, v83
	s_mov_b32 s44, 0x3f65296c
	v_pk_add_f32 v[230:231], v[14:15], v[16:17] neg_lo:[0,1] neg_hi:[0,1]
	v_pk_add_f32 v[0:1], v[40:41], v[0:1]
	v_pk_add_f32 v[228:229], v[16:17], v[14:15]
	v_pk_mul_f32 v[40:41], v[230:231], s[44:45] op_sel:[1,0] op_sel_hi:[0,0]
	v_accvgpr_write_b32 a15, v49
	v_pk_fma_f32 v[48:49], v[228:229], s[8:9], v[40:41] op_sel_hi:[1,0,1]
	v_pk_fma_f32 v[108:109], v[228:229], s[8:9], v[40:41] op_sel_hi:[1,0,1] neg_lo:[0,0,1] neg_hi:[0,0,1]
	v_mov_b32_e32 v40, v48
	v_mov_b32_e32 v41, v109
	v_pk_add_f32 v[2:3], v[40:41], v[2:3]
	v_pk_mul_f32 v[40:41], v[230:231], s[6:7] op_sel:[1,0] op_sel_hi:[0,0]
	v_mov_b32_e32 v83, v49
	v_pk_fma_f32 v[48:49], v[228:229], s[2:3], v[40:41] op_sel_hi:[1,0,1]
	v_pk_fma_f32 v[98:99], v[228:229], s[2:3], v[40:41] op_sel_hi:[1,0,1] neg_lo:[0,0,1] neg_hi:[0,0,1]
	v_mov_b32_e32 v40, v48
	v_mov_b32_e32 v41, v99
	s_mov_b32 s40, 0x3eb8f4ab
	v_pk_add_f32 v[196:197], v[8:9], v[10:11] neg_lo:[0,1] neg_hi:[0,1]
	v_pk_add_f32 v[0:1], v[40:41], v[0:1]
	v_pk_add_f32 v[190:191], v[10:11], v[8:9]
	v_pk_mul_f32 v[40:41], v[196:197], s[40:41] op_sel:[1,0] op_sel_hi:[0,0]
	v_accvgpr_write_b32 a17, v49
	v_pk_fma_f32 v[48:49], v[190:191], s[36:37], v[40:41] op_sel_hi:[1,0,1]
	v_pk_fma_f32 v[116:117], v[190:191], s[36:37], v[40:41] op_sel_hi:[1,0,1] neg_lo:[0,0,1] neg_hi:[0,0,1]
	s_mov_b32 s48, 0xbf06c442
	v_mov_b32_e32 v40, v48
	v_mov_b32_e32 v41, v117
	v_pk_add_f32 v[2:3], v[40:41], v[2:3]
	v_pk_mul_f32 v[40:41], v[196:197], s[48:49] op_sel:[1,0] op_sel_hi:[0,0]
	v_mov_b32_e32 v99, v49
	v_pk_fma_f32 v[48:49], v[190:191], s[34:35], v[40:41] op_sel_hi:[1,0,1]
	v_pk_fma_f32 v[112:113], v[190:191], s[34:35], v[40:41] op_sel_hi:[1,0,1] neg_lo:[0,0,1] neg_hi:[0,0,1]
	v_mov_b32_e32 v40, v48
	v_mov_b32_e32 v41, v113
	v_pk_add_f32 v[0:1], v[40:41], v[0:1]
	v_pk_mul_f32 v[40:41], v[186:187], s[52:53] op_sel_hi:[1,0]
	v_accvgpr_write_b32 a19, v49
	v_pk_fma_f32 v[48:49], v[102:103], s[36:37], v[40:41] op_sel:[0,0,1] op_sel_hi:[1,0,0]
	v_pk_fma_f32 v[130:131], v[102:103], s[36:37], v[40:41] op_sel:[0,0,1] op_sel_hi:[1,0,0] neg_lo:[0,0,1] neg_hi:[0,0,1]
	v_mov_b32_e32 v117, v49
	v_mov_b32_e32 v40, v48
	v_pk_mul_f32 v[48:49], v[188:189], s[18:19] op_sel_hi:[1,0]
	v_mov_b32_e32 v41, v131
	v_pk_fma_f32 v[50:51], v[118:119], s[16:17], v[48:49] op_sel:[0,0,1] op_sel_hi:[1,0,0]
	v_pk_fma_f32 v[134:135], v[118:119], s[16:17], v[48:49] op_sel:[0,0,1] op_sel_hi:[1,0,0] neg_lo:[0,0,1] neg_hi:[0,0,1]
	v_pk_add_f32 v[40:41], v[40:41], v[4:5]
	v_mov_b32_e32 v48, v50
	v_mov_b32_e32 v49, v135
	v_pk_add_f32 v[40:41], v[48:49], v[40:41]
	v_pk_mul_f32 v[48:49], v[216:217], s[10:11] op_sel_hi:[1,0]
	v_mov_b32_e32 v67, v51
	v_pk_fma_f32 v[50:51], v[122:123], s[8:9], v[48:49] op_sel:[0,0,1] op_sel_hi:[1,0,0]
	v_pk_fma_f32 v[138:139], v[122:123], s[8:9], v[48:49] op_sel:[0,0,1] op_sel_hi:[1,0,0] neg_lo:[0,0,1] neg_hi:[0,0,1]
	v_mov_b32_e32 v48, v50
	v_mov_b32_e32 v49, v139
	v_pk_add_f32 v[40:41], v[48:49], v[40:41]
	v_pk_mul_f32 v[48:49], v[194:195], s[6:7] op_sel:[1,0] op_sel_hi:[0,0]
	v_mov_b32_e32 v79, v51
	v_pk_fma_f32 v[50:51], v[192:193], s[2:3], v[48:49] op_sel_hi:[1,0,1]
	v_pk_fma_f32 v[142:143], v[192:193], s[2:3], v[48:49] op_sel_hi:[1,0,1] neg_lo:[0,0,1] neg_hi:[0,0,1]
	v_mov_b32_e32 v48, v50
	v_mov_b32_e32 v49, v143
	s_mov_b32 s50, 0xbf763a35
	v_pk_add_f32 v[40:41], v[48:49], v[40:41]
	v_pk_mul_f32 v[48:49], v[200:201], s[50:51] op_sel:[1,0] op_sel_hi:[0,0]
	v_mov_b32_e32 v95, v51
	v_pk_fma_f32 v[50:51], v[198:199], s[22:23], v[48:49] op_sel_hi:[1,0,1]
	v_pk_fma_f32 v[146:147], v[198:199], s[22:23], v[48:49] op_sel_hi:[1,0,1] neg_lo:[0,0,1] neg_hi:[0,0,1]
	v_mov_b32_e32 v48, v50
	v_mov_b32_e32 v49, v147
	v_pk_add_f32 v[40:41], v[48:49], v[40:41]
	v_pk_mul_f32 v[48:49], v[204:205], s[26:27] op_sel:[1,0] op_sel_hi:[0,0]
	v_mov_b32_e32 v109, v51
	v_pk_fma_f32 v[50:51], v[202:203], s[20:21], v[48:49] op_sel_hi:[1,0,1]
	v_pk_fma_f32 v[150:151], v[202:203], s[20:21], v[48:49] op_sel_hi:[1,0,1] neg_lo:[0,0,1] neg_hi:[0,0,1]
	v_mov_b32_e32 v48, v50
	v_mov_b32_e32 v49, v151
	;; [unrolled: 7-line block ×3, first 2 shown]
	v_pk_add_f32 v[40:41], v[48:49], v[40:41]
	v_pk_mul_f32 v[48:49], v[196:197], s[38:39] op_sel:[1,0] op_sel_hi:[0,0]
	v_accvgpr_write_b32 a25, v51
	v_pk_fma_f32 v[50:51], v[190:191], s[28:29], v[48:49] op_sel_hi:[1,0,1]
	v_pk_fma_f32 v[168:169], v[190:191], s[28:29], v[48:49] op_sel_hi:[1,0,1] neg_lo:[0,0,1] neg_hi:[0,0,1]
	v_mov_b32_e32 v48, v50
	v_mov_b32_e32 v49, v169
	v_pk_add_f32 v[178:179], v[48:49], v[40:41]
	v_pk_mul_f32 v[40:41], v[186:187], s[50:51] op_sel_hi:[1,0]
	v_accvgpr_write_b32 a29, v51
	v_pk_fma_f32 v[48:49], v[102:103], s[22:23], v[40:41] op_sel:[0,0,1] op_sel_hi:[1,0,0]
	v_pk_fma_f32 v[124:125], v[102:103], s[22:23], v[40:41] op_sel:[0,0,1] op_sel_hi:[1,0,0] neg_lo:[0,0,1] neg_hi:[0,0,1]
	v_accvgpr_write_b32 a21, v49
	v_mov_b32_e32 v40, v48
	v_pk_mul_f32 v[48:49], v[188:189], s[46:47] op_sel_hi:[1,0]
	v_mov_b32_e32 v41, v125
	v_pk_fma_f32 v[50:51], v[118:119], s[34:35], v[48:49] op_sel:[0,0,1] op_sel_hi:[1,0,0]
	v_pk_fma_f32 v[128:129], v[118:119], s[34:35], v[48:49] op_sel:[0,0,1] op_sel_hi:[1,0,0] neg_lo:[0,0,1] neg_hi:[0,0,1]
	v_mov_b32_e32 v48, v50
	v_mov_b32_e32 v49, v129
	v_pk_add_f32 v[40:41], v[40:41], v[4:5]
	v_accvgpr_write_b32 a23, v51
	v_pk_add_f32 v[40:41], v[48:49], v[40:41]
	v_pk_mul_f32 v[48:49], v[216:217], s[42:43] op_sel_hi:[1,0]
	s_mov_b32 s46, 0x3f7ee86f
	v_pk_fma_f32 v[50:51], v[122:123], s[16:17], v[48:49] op_sel:[0,0,1] op_sel_hi:[1,0,0]
	v_pk_fma_f32 v[158:159], v[122:123], s[16:17], v[48:49] op_sel:[0,0,1] op_sel_hi:[1,0,0] neg_lo:[0,0,1] neg_hi:[0,0,1]
	v_mov_b32_e32 v48, v50
	v_mov_b32_e32 v49, v159
	v_pk_add_f32 v[40:41], v[48:49], v[40:41]
	v_pk_mul_f32 v[48:49], v[194:195], s[10:11] op_sel:[1,0] op_sel_hi:[0,0]
	v_accvgpr_write_b32 a27, v51
	v_pk_fma_f32 v[50:51], v[192:193], s[8:9], v[48:49] op_sel_hi:[1,0,1]
	v_pk_fma_f32 v[166:167], v[192:193], s[8:9], v[48:49] op_sel_hi:[1,0,1] neg_lo:[0,0,1] neg_hi:[0,0,1]
	v_mov_b32_e32 v48, v50
	v_mov_b32_e32 v49, v167
	v_pk_add_f32 v[40:41], v[48:49], v[40:41]
	v_pk_mul_f32 v[48:49], v[200:201], s[38:39] op_sel:[1,0] op_sel_hi:[0,0]
	v_accvgpr_write_b32 a31, v51
	v_pk_fma_f32 v[50:51], v[198:199], s[28:29], v[48:49] op_sel_hi:[1,0,1]
	v_pk_fma_f32 v[172:173], v[198:199], s[28:29], v[48:49] op_sel_hi:[1,0,1] neg_lo:[0,0,1] neg_hi:[0,0,1]
	;; [unrolled: 7-line block ×4, first 2 shown]
	v_mov_b32_e32 v48, v50
	v_mov_b32_e32 v49, v181
	v_pk_add_f32 v[40:41], v[48:49], v[40:41]
	v_pk_mul_f32 v[48:49], v[196:197], s[26:27] op_sel:[1,0] op_sel_hi:[0,0]
	v_pk_fma_f32 v[182:183], v[190:191], s[20:21], v[48:49] op_sel_hi:[1,0,1]
	v_pk_fma_f32 v[184:185], v[190:191], s[20:21], v[48:49] op_sel_hi:[1,0,1] neg_lo:[0,0,1] neg_hi:[0,0,1]
	v_mov_b32_e32 v48, v182
	v_mov_b32_e32 v49, v185
	v_pk_mul_f32 v[232:233], v[202:203], s[34:35] op_sel_hi:[1,0]
	v_pk_mul_f32 v[240:241], v[202:203], s[16:17] op_sel_hi:[1,0]
	v_pk_mul_f32 v[238:239], v[204:205], s[48:49] op_sel:[1,0] op_sel_hi:[0,0]
	v_pk_mul_f32 v[242:243], v[204:205], s[18:19] op_sel:[1,0] op_sel_hi:[0,0]
	v_accvgpr_write_b32 a37, v51
	v_pk_add_f32 v[40:41], v[48:49], v[40:41]
	v_mov_b32_e32 v48, v233
	v_mov_b32_e32 v49, v240
	;; [unrolled: 1-line block ×4, first 2 shown]
	v_pk_add_f32 v[54:55], v[48:49], v[50:51] neg_lo:[0,1] neg_hi:[0,1]
	v_pk_add_f32 v[48:49], v[48:49], v[50:51]
	v_pk_mul_f32 v[58:59], v[186:187], s[26:27] op_sel_hi:[1,0]
	v_mov_b32_e32 v55, v49
	v_pk_mul_f32 v[48:49], v[186:187], s[6:7] op_sel_hi:[1,0]
	v_pk_fma_f32 v[248:249], v[102:103], s[20:21], v[58:59] op_sel:[0,0,1] op_sel_hi:[1,0,0]
	v_pk_fma_f32 v[208:209], v[102:103], s[2:3], v[48:49] op_sel:[0,0,1] op_sel_hi:[1,0,0] neg_lo:[0,0,1] neg_hi:[0,0,1]
	v_pk_mul_f32 v[60:61], v[188:189], s[38:39] op_sel_hi:[1,0]
	v_pk_mul_f32 v[64:65], v[188:189], s[24:25] op_sel_hi:[1,0]
	v_mov_b32_e32 v50, v248
	v_mov_b32_e32 v51, v209
	v_pk_fma_f32 v[210:211], v[118:119], s[28:29], v[60:61] op_sel:[0,0,1] op_sel_hi:[1,0,0] neg_lo:[0,0,1] neg_hi:[0,0,1]
	v_pk_fma_f32 v[250:251], v[118:119], s[22:23], v[64:65] op_sel:[0,0,1] op_sel_hi:[1,0,0]
	v_pk_add_f32 v[50:51], v[50:51], v[4:5]
	v_mov_b32_e32 v68, v250
	v_mov_b32_e32 v69, v211
	v_pk_add_f32 v[50:51], v[68:69], v[50:51]
	v_pk_mul_f32 v[68:69], v[216:217], s[24:25] op_sel_hi:[1,0]
	v_pk_mul_f32 v[72:73], v[216:217], s[52:53] op_sel_hi:[1,0]
	v_pk_fma_f32 v[218:219], v[122:123], s[22:23], v[68:69] op_sel:[0,0,1] op_sel_hi:[1,0,0] neg_lo:[0,0,1] neg_hi:[0,0,1]
	v_pk_fma_f32 v[252:253], v[122:123], s[36:37], v[72:73] op_sel:[0,0,1] op_sel_hi:[1,0,0]
	v_mov_b32_e32 v75, v219
	v_mov_b32_e32 v74, v252
	v_pk_add_f32 v[50:51], v[74:75], v[50:51]
	v_pk_mul_f32 v[74:75], v[194:195], s[40:41] op_sel:[1,0] op_sel_hi:[0,0]
	v_pk_mul_f32 v[76:77], v[194:195], s[48:49] op_sel:[1,0] op_sel_hi:[0,0]
	v_pk_fma_f32 v[222:223], v[192:193], s[36:37], v[74:75] op_sel_hi:[1,0,1] neg_lo:[0,0,1] neg_hi:[0,0,1]
	v_pk_fma_f32 v[254:255], v[192:193], s[34:35], v[76:77] op_sel_hi:[1,0,1]
	v_mov_b32_e32 v87, v223
	v_mov_b32_e32 v86, v254
	v_pk_mul_f32 v[100:101], v[200:201], s[10:11] op_sel:[1,0] op_sel_hi:[0,0]
	v_pk_mul_f32 v[104:105], v[200:201], s[46:47] op_sel:[1,0] op_sel_hi:[0,0]
	v_pk_add_f32 v[50:51], v[86:87], v[50:51]
	v_pk_fma_f32 v[226:227], v[198:199], s[8:9], v[100:101] op_sel_hi:[1,0,1] neg_lo:[0,0,1] neg_hi:[0,0,1]
	v_pk_fma_f32 v[86:87], v[198:199], s[2:3], v[104:105] op_sel_hi:[1,0,1]
	v_mov_b32_e32 v207, v227
	v_mov_b32_e32 v206, v86
	v_pk_add_f32 v[50:51], v[206:207], v[50:51]
	s_mov_b32 s49, s18
	v_pk_add_f32 v[234:235], v[54:55], v[50:51] op_sel:[0,1] op_sel_hi:[1,0]
	v_pk_fma_f32 v[206:207], v[192:193], s[34:35], v[76:77] op_sel_hi:[1,0,1] neg_lo:[0,0,1] neg_hi:[0,0,1]
	s_mov_b32 s35, s16
	v_pk_mul_f32 v[50:51], v[204:205], s[48:49] op_sel:[1,0] op_sel_hi:[0,1]
	v_pk_fma_f32 v[76:77], v[202:203], s[34:35], v[50:51]
	v_pk_fma_f32 v[50:51], v[202:203], s[34:35], v[50:51] neg_lo:[0,0,1] neg_hi:[0,0,1]
	v_pk_fma_f32 v[214:215], v[102:103], s[20:21], v[58:59] op_sel:[0,0,1] op_sel_hi:[1,0,0] neg_lo:[0,0,1] neg_hi:[0,0,1]
	v_mov_b32_e32 v77, v51
	v_pk_fma_f32 v[50:51], v[102:103], s[2:3], v[48:49] op_sel:[0,0,1] op_sel_hi:[1,0,0]
	v_pk_fma_f32 v[48:49], v[118:119], s[28:29], v[60:61] op_sel:[0,0,1] op_sel_hi:[1,0,0]
	v_pk_fma_f32 v[212:213], v[118:119], s[22:23], v[64:65] op_sel:[0,0,1] op_sel_hi:[1,0,0] neg_lo:[0,0,1] neg_hi:[0,0,1]
	v_mov_b32_e32 v54, v50
	v_mov_b32_e32 v55, v215
	v_pk_add_f32 v[54:55], v[54:55], v[4:5]
	v_mov_b32_e32 v58, v48
	v_mov_b32_e32 v59, v213
	v_pk_add_f32 v[58:59], v[58:59], v[54:55]
	v_pk_fma_f32 v[54:55], v[122:123], s[22:23], v[68:69] op_sel:[0,0,1] op_sel_hi:[1,0,0]
	v_pk_fma_f32 v[220:221], v[122:123], s[36:37], v[72:73] op_sel:[0,0,1] op_sel_hi:[1,0,0] neg_lo:[0,0,1] neg_hi:[0,0,1]
	v_mov_b32_e32 v60, v54
	v_mov_b32_e32 v61, v221
	v_pk_add_f32 v[58:59], v[60:61], v[58:59]
	v_pk_fma_f32 v[60:61], v[192:193], s[36:37], v[74:75] op_sel_hi:[1,0,1]
	v_mov_b32_e32 v65, v207
	v_mov_b32_e32 v64, v60
	v_pk_add_f32 v[58:59], v[64:65], v[58:59]
	v_pk_fma_f32 v[64:65], v[198:199], s[8:9], v[100:101] op_sel_hi:[1,0,1]
	v_pk_fma_f32 v[224:225], v[198:199], s[2:3], v[104:105] op_sel_hi:[1,0,1] neg_lo:[0,0,1] neg_hi:[0,0,1]
	v_mov_b32_e32 v68, v64
	v_mov_b32_e32 v69, v225
	v_pk_add_f32 v[58:59], v[68:69], v[58:59]
	v_pk_mul_f32 v[80:81], v[186:187], s[48:49] op_sel_hi:[1,0]
	v_pk_add_f32 v[72:73], v[76:77], v[58:59]
	v_pk_fma_f32 v[58:59], v[102:103], s[34:35], v[80:81] op_sel:[0,0,1] op_sel_hi:[1,0,0] neg_lo:[0,0,1] neg_hi:[0,0,1]
	v_pk_fma_f32 v[68:69], v[102:103], s[34:35], v[80:81] op_sel:[0,0,1] op_sel_hi:[1,0,0]
	v_pk_mul_f32 v[90:91], v[188:189], s[44:45] op_sel_hi:[1,0]
	v_mov_b32_e32 v59, v69
	v_pk_fma_f32 v[68:69], v[118:119], s[8:9], v[90:91] op_sel:[0,0,1] op_sel_hi:[1,0,0] neg_lo:[0,0,1] neg_hi:[0,0,1]
	v_pk_fma_f32 v[74:75], v[118:119], s[8:9], v[90:91] op_sel:[0,0,1] op_sel_hi:[1,0,0]
	v_pk_mul_f32 v[92:93], v[216:217], s[6:7] op_sel_hi:[1,0]
	s_mov_b32 s54, 0x3f4c4adb
	v_mov_b32_e32 v69, v75
	v_pk_fma_f32 v[74:75], v[122:123], s[2:3], v[92:93] op_sel:[0,0,1] op_sel_hi:[1,0,0] neg_lo:[0,0,1] neg_hi:[0,0,1]
	v_pk_fma_f32 v[76:77], v[122:123], s[2:3], v[92:93] op_sel:[0,0,1] op_sel_hi:[1,0,0]
	v_pk_mul_f32 v[96:97], v[194:195], s[54:55] op_sel:[1,0] op_sel_hi:[0,0]
	v_pk_add_f32 v[58:59], v[58:59], v[4:5]
	v_mov_b32_e32 v75, v77
	v_pk_fma_f32 v[76:77], v[192:193], s[20:21], v[96:97] op_sel_hi:[1,0,1] neg_lo:[0,0,1] neg_hi:[0,0,1]
	v_pk_fma_f32 v[100:101], v[192:193], s[20:21], v[96:97] op_sel_hi:[1,0,1]
	v_pk_mul_f32 v[106:107], v[200:201], s[52:53] op_sel:[1,0] op_sel_hi:[0,0]
	v_pk_add_f32 v[58:59], v[68:69], v[58:59]
	v_mov_b32_e32 v77, v101
	v_pk_fma_f32 v[100:101], v[198:199], s[36:37], v[106:107] op_sel_hi:[1,0,1] neg_lo:[0,0,1] neg_hi:[0,0,1]
	v_pk_fma_f32 v[104:105], v[198:199], s[36:37], v[106:107] op_sel_hi:[1,0,1]
	;; [unrolled: 5-line block ×4, first 2 shown]
	v_pk_add_f32 v[58:59], v[100:101], v[58:59]
	v_pk_mul_f32 v[114:115], v[196:197], s[50:51] op_sel:[1,0] op_sel_hi:[0,0]
	v_mov_b32_e32 v237, v245
	v_pk_add_f32 v[58:59], v[104:105], v[58:59]
	v_pk_fma_f32 v[68:69], v[190:191], s[22:23], v[114:115] op_sel_hi:[1,0,1] neg_lo:[0,0,1] neg_hi:[0,0,1]
	v_pk_fma_f32 v[74:75], v[190:191], s[22:23], v[114:115] op_sel_hi:[1,0,1]
	v_pk_add_f32 v[58:59], v[236:237], v[58:59]
	v_mov_b32_e32 v69, v75
	v_pk_add_f32 v[58:59], v[68:69], v[58:59]
	v_pk_mul_f32 v[68:69], v[230:231], s[54:55] op_sel:[1,0] op_sel_hi:[0,0]
	v_pk_mul_f32 v[76:77], v[230:231], s[38:39] op_sel:[1,0] op_sel_hi:[0,0]
	v_pk_fma_f32 v[244:245], v[228:229], s[20:21], v[68:69] op_sel_hi:[1,0,1] neg_lo:[0,0,1] neg_hi:[0,0,1]
	v_pk_fma_f32 v[74:75], v[228:229], s[28:29], v[76:77] op_sel_hi:[1,0,1]
	v_mov_b32_e32 v100, v245
	v_mov_b32_e32 v101, v74
	v_pk_add_f32 v[100:101], v[100:101], v[234:235]
	v_pk_fma_f32 v[68:69], v[228:229], s[20:21], v[68:69] op_sel_hi:[1,0,1]
	v_pk_fma_f32 v[234:235], v[228:229], s[28:29], v[76:77] op_sel_hi:[1,0,1] neg_lo:[0,0,1] neg_hi:[0,0,1]
	v_mov_b32_e32 v76, v68
	v_mov_b32_e32 v77, v235
	v_pk_add_f32 v[120:121], v[76:77], v[72:73]
	v_pk_mul_f32 v[72:73], v[196:197], s[42:43] op_sel:[1,0] op_sel_hi:[0,0]
	v_pk_mul_f32 v[236:237], v[196:197], s[44:45] op_sel:[1,0] op_sel_hi:[0,0]
	v_pk_fma_f32 v[246:247], v[190:191], s[16:17], v[72:73] op_sel_hi:[1,0,1] neg_lo:[0,0,1] neg_hi:[0,0,1]
	v_pk_fma_f32 v[76:77], v[190:191], s[8:9], v[236:237] op_sel_hi:[1,0,1]
	v_mov_b32_e32 v104, v247
	v_mov_b32_e32 v105, v76
	v_pk_fma_f32 v[72:73], v[190:191], s[16:17], v[72:73] op_sel_hi:[1,0,1]
	v_pk_fma_f32 v[236:237], v[190:191], s[8:9], v[236:237] op_sel_hi:[1,0,1] neg_lo:[0,0,1] neg_hi:[0,0,1]
	v_pk_add_f32 v[104:105], v[104:105], v[100:101]
	v_mov_b32_e32 v100, v72
	v_mov_b32_e32 v101, v237
	v_pk_add_f32 v[100:101], v[100:101], v[120:121]
	v_pk_mul_f32 v[120:121], v[186:187], s[38:39] op_sel_hi:[1,0]
	v_pk_mul_f32 v[162:163], v[230:231], s[50:51] op_sel:[1,0] op_sel_hi:[0,0]
	v_pk_fma_f32 v[126:127], v[102:103], s[28:29], v[120:121] op_sel:[0,0,1] op_sel_hi:[1,0,0]
	v_pk_fma_f32 v[186:187], v[102:103], s[28:29], v[120:121] op_sel:[0,0,1] op_sel_hi:[1,0,0] neg_lo:[0,0,1] neg_hi:[0,0,1]
	s_mov_b32 s19, s26
	v_mov_b32_e32 v127, v187
	v_pk_mul_f32 v[186:187], v[188:189], s[40:41] op_sel_hi:[1,0]
	v_pk_add_f32 v[126:127], v[126:127], v[4:5]
	v_pk_fma_f32 v[132:133], v[118:119], s[36:37], v[186:187] op_sel:[0,0,1] op_sel_hi:[1,0,0]
	v_pk_fma_f32 v[188:189], v[118:119], s[36:37], v[186:187] op_sel:[0,0,1] op_sel_hi:[1,0,0] neg_lo:[0,0,1] neg_hi:[0,0,1]
	s_mov_b32 s55, s40
	v_mov_b32_e32 v133, v189
	v_pk_mul_f32 v[188:189], v[216:217], s[48:49] op_sel_hi:[1,0]
	v_pk_add_f32 v[126:127], v[132:133], v[126:127]
	v_pk_fma_f32 v[136:137], v[122:123], s[34:35], v[188:189] op_sel:[0,0,1] op_sel_hi:[1,0,0]
	v_pk_fma_f32 v[216:217], v[122:123], s[34:35], v[188:189] op_sel:[0,0,1] op_sel_hi:[1,0,0] neg_lo:[0,0,1] neg_hi:[0,0,1]
	v_pk_mul_f32 v[132:133], v[192:193], s[16:17] op_sel_hi:[1,0]
	v_mov_b32_e32 v137, v217
	v_pk_mul_f32 v[216:217], v[194:195], s[42:43] op_sel:[1,0] op_sel_hi:[0,0]
	v_pk_fma_f32 v[144:145], v[192:193], s[16:17], v[216:217] op_sel_hi:[1,0,1]
	v_pk_fma_f32 v[140:141], v[192:193], s[16:17], v[216:217] op_sel_hi:[1,0,1] neg_lo:[0,0,1] neg_hi:[0,0,1]
	v_pk_add_f32 v[126:127], v[136:137], v[126:127]
	v_mov_b32_e32 v145, v141
	v_pk_mul_f32 v[140:141], v[200:201], s[26:27] op_sel:[1,0] op_sel_hi:[0,0]
	v_pk_fma_f32 v[152:153], v[198:199], s[20:21], v[140:141] op_sel_hi:[1,0,1]
	v_pk_fma_f32 v[148:149], v[198:199], s[20:21], v[140:141] op_sel_hi:[1,0,1] neg_lo:[0,0,1] neg_hi:[0,0,1]
	v_pk_add_f32 v[126:127], v[144:145], v[126:127]
	;; [unrolled: 5-line block ×3, first 2 shown]
	v_mov_b32_e32 v157, v155
	v_pk_mul_f32 v[154:155], v[228:229], s[22:23] op_sel_hi:[1,0]
	v_pk_mul_f32 v[136:137], v[194:195], s[18:19] op_sel:[1,0] op_sel_hi:[0,1]
	v_mov_b32_e32 v154, v155
	v_mov_b32_e32 v155, v110
	v_pk_mul_f32 v[110:111], v[228:229], s[16:17] op_sel_hi:[1,0]
	s_mov_b32 s17, s20
	v_mov_b32_e32 v111, v110
	v_mov_b32_e32 v110, v163
	v_pk_add_f32 v[110:111], v[110:111], v[154:155]
	v_pk_mul_f32 v[154:155], v[190:191], s[22:23] op_sel_hi:[1,0]
	s_mov_b32 s23, s16
	v_pk_fma_f32 v[164:165], v[228:229], s[22:23], v[162:163] op_sel_hi:[1,0,1]
	v_pk_fma_f32 v[162:163], v[228:229], s[22:23], v[162:163] op_sel_hi:[1,0,1] neg_lo:[0,0,1] neg_hi:[0,0,1]
	v_pk_mul_f32 v[144:145], v[192:193], s[20:21] op_sel_hi:[1,0]
	v_mov_b32_e32 v165, v163
	v_pk_mul_f32 v[152:153], v[198:199], s[20:21] op_sel_hi:[1,0]
	s_mov_b32 s21, s36
	v_pk_mul_f32 v[162:163], v[200:201], s[54:55] op_sel:[1,0] op_sel_hi:[0,1]
	s_mov_b32 s25, s18
	v_pk_fma_f32 v[136:137], v[192:193], s[16:17], v[136:137]
	v_pk_fma_f32 v[162:163], v[198:199], s[20:21], v[162:163]
	v_pk_mul_f32 v[192:193], v[198:199], s[36:37] op_sel_hi:[1,0]
	v_pk_mul_f32 v[194:195], v[118:119], s[36:37] op_sel_hi:[1,0]
	s_mov_b32 s37, s8
	v_mov_b32_e32 v198, v187
	v_mov_b32_e32 v199, v90
	s_mov_b32 s11, s30
	v_pk_mul_f32 v[230:231], v[230:231], s[24:25] op_sel:[1,0] op_sel_hi:[0,1]
	v_pk_fma_f32 v[198:199], v[118:119], s[36:37], v[198:199] neg_lo:[0,0,1] neg_hi:[0,0,1]
	v_pk_mul_f32 v[118:119], v[118:119], s[8:9] op_sel_hi:[1,0]
	v_pk_mul_f32 v[200:201], v[202:203], s[8:9] op_sel_hi:[1,0]
	s_mov_b32 s9, s28
	v_pk_mul_f32 v[204:205], v[204:205], s[10:11] op_sel:[1,0] op_sel_hi:[0,1]
	v_pk_fma_f32 v[230:231], v[228:229], s[22:23], v[230:231]
	v_pk_fma_f32 v[204:205], v[202:203], s[8:9], v[204:205]
	v_pk_mul_f32 v[202:203], v[202:203], s[28:29] op_sel_hi:[1,0]
	v_pk_mul_f32 v[228:229], v[102:103], s[28:29] op_sel_hi:[1,0]
	s_mov_b32 s29, s34
	v_mov_b32_e32 v170, v121
	v_mov_b32_e32 v171, v80
	v_pk_fma_f32 v[170:171], v[102:103], s[28:29], v[170:171] neg_lo:[0,0,1] neg_hi:[0,0,1]
	v_pk_mul_f32 v[102:103], v[102:103], s[34:35] op_sel_hi:[1,0]
	v_mov_b32_e32 v174, v189
	v_mov_b32_e32 v121, v102
	v_pk_mul_f32 v[102:103], v[122:123], s[2:3] op_sel_hi:[1,0]
	v_mov_b32_e32 v187, v118
	v_mov_b32_e32 v189, v102
	;; [unrolled: 1-line block ×6, first 2 shown]
	v_pk_add_f32 v[96:97], v[102:103], v[118:119]
	v_mov_b32_e32 v102, v141
	v_mov_b32_e32 v103, v192
	;; [unrolled: 1-line block ×4, first 2 shown]
	v_pk_add_f32 v[170:171], v[170:171], v[4:5]
	v_mov_b32_e32 v80, v229
	v_pk_add_f32 v[102:103], v[102:103], v[118:119]
	v_mov_b32_e32 v106, v149
	v_mov_b32_e32 v107, v202
	;; [unrolled: 1-line block ×4, first 2 shown]
	v_pk_add_f32 v[170:171], v[198:199], v[170:171]
	v_pk_mul_f32 v[198:199], v[122:123], s[34:35] op_sel_hi:[1,0]
	v_pk_add_f32 v[80:81], v[120:121], v[80:81]
	v_mov_b32_e32 v90, v195
	v_pk_add_f32 v[88:89], v[106:107], v[118:119]
	v_mov_b32_e32 v106, v5
	v_mov_b32_e32 v107, v4
	s_mov_b32 s35, s2
	v_mov_b32_e32 v175, v92
	v_pk_add_f32 v[90:91], v[186:187], v[90:91]
	v_mov_b32_e32 v92, v199
	v_pk_add_f32 v[80:81], v[80:81], v[106:107]
	v_pk_fma_f32 v[174:175], v[122:123], s[34:35], v[174:175] neg_lo:[0,0,1] neg_hi:[0,0,1]
	v_pk_add_f32 v[92:93], v[188:189], v[92:93]
	v_pk_add_f32 v[80:81], v[90:91], v[80:81]
	;; [unrolled: 1-line block ×6, first 2 shown]
	v_pk_mul_f32 v[92:93], v[190:191], s[2:3] op_sel_hi:[1,0]
	v_pk_mul_f32 v[106:107], v[196:197], s[46:47] op_sel:[1,0] op_sel_hi:[0,0]
	v_pk_add_f32 v[136:137], v[162:163], v[136:137]
	v_pk_add_f32 v[80:81], v[102:103], v[80:81]
	v_mov_b32_e32 v92, v93
	v_mov_b32_e32 v93, v154
	;; [unrolled: 1-line block ×4, first 2 shown]
	s_mov_b32 s7, s24
	v_pk_add_f32 v[136:137], v[204:205], v[136:137]
	v_pk_add_f32 v[80:81], v[88:89], v[80:81]
	;; [unrolled: 1-line block ×3, first 2 shown]
	s_mov_b32 s3, s22
	v_pk_mul_f32 v[96:97], v[196:197], s[6:7] op_sel:[1,0] op_sel_hi:[0,1]
	v_pk_add_f32 v[90:91], v[230:231], v[136:137]
	v_pk_add_f32 v[80:81], v[110:111], v[80:81]
	v_pk_fma_f32 v[96:97], v[190:191], s[2:3], v[96:97]
	v_pk_add_f32 v[88:89], v[156:157], v[126:127]
	v_pk_add_f32 v[102:103], v[96:97], v[90:91]
	;; [unrolled: 1-line block ×3, first 2 shown]
	v_pk_fma_f32 v[80:81], v[190:191], s[2:3], v[106:107] op_sel_hi:[1,0,1]
	v_pk_fma_f32 v[90:91], v[190:191], s[2:3], v[106:107] op_sel_hi:[1,0,1] neg_lo:[0,0,1] neg_hi:[0,0,1]
	v_accvgpr_read_b32 v144, a1
	v_pk_add_f32 v[88:89], v[164:165], v[88:89]
	v_mov_b32_e32 v81, v91
	v_mul_lo_u16_e32 v39, 17, v144
	v_mov_b64_e32 v[148:149], v[178:179]
	v_pk_add_f32 v[122:123], v[80:81], v[88:89]
	v_accvgpr_write_b32 a4, v39
	s_barrier
	s_and_saveexec_b64 s[2:3], s[4:5]
	s_cbranch_execz .LBB0_7
; %bb.6:
	v_pk_add_f32 v[6:7], v[6:7], v[4:5]
	v_mov_b32_e32 v131, v117
	v_pk_add_f32 v[6:7], v[28:29], v[6:7]
	v_mov_b32_e32 v135, v67
	;; [unrolled: 2-line block ×6, first 2 shown]
	v_pk_add_f32 v[6:7], v[14:15], v[6:7]
	v_accvgpr_read_b32 v161, a25
	v_pk_add_f32 v[6:7], v[8:9], v[6:7]
	v_pk_add_f32 v[8:9], v[130:131], v[4:5]
	;; [unrolled: 1-line block ×13, first 2 shown]
	v_accvgpr_read_b32 v20, a4
	v_pk_add_f32 v[6:7], v[34:35], v[6:7]
	v_pk_add_f32 v[8:9], v[160:161], v[8:9]
	v_accvgpr_read_b32 v169, a29
	v_accvgpr_read_b32 v47, a13
	v_mov_b32_e32 v39, v85
	v_lshlrev_b32_e32 v20, 3, v20
	v_pk_add_f32 v[6:7], v[36:37], v[6:7]
	v_pk_add_f32 v[8:9], v[168:169], v[8:9]
	v_mov_b32_e32 v45, v43
	v_accvgpr_read_b32 v43, a3
	ds_write2_b64 v20, v[6:7], v[8:9] offset1:1
	v_pk_add_f32 v[6:7], v[38:39], v[4:5]
	v_pk_add_f32 v[8:9], v[46:47], v[4:5]
	v_mov_b32_e32 v53, v57
	v_pk_add_f32 v[6:7], v[42:43], v[6:7]
	v_accvgpr_read_b32 v57, a5
	v_pk_add_f32 v[8:9], v[44:45], v[8:9]
	v_pk_add_f32 v[6:7], v[56:57], v[6:7]
	v_accvgpr_read_b32 v67, a9
	v_mov_b32_e32 v79, v63
	v_pk_add_f32 v[8:9], v[52:53], v[8:9]
	v_accvgpr_read_b32 v63, a7
	v_pk_add_f32 v[6:7], v[66:67], v[6:7]
	v_mov_b32_e32 v95, v71
	v_pk_add_f32 v[8:9], v[62:63], v[8:9]
	v_accvgpr_read_b32 v71, a11
	v_pk_add_f32 v[6:7], v[78:79], v[6:7]
	;; [unrolled: 4-line block ×4, first 2 shown]
	v_pk_add_f32 v[8:9], v[98:99], v[8:9]
	v_accvgpr_read_b32 v113, a19
	v_mov_b32_e32 v215, v249
	v_mov_b32_e32 v209, v51
	v_pk_add_f32 v[6:7], v[116:117], v[6:7]
	v_pk_add_f32 v[8:9], v[112:113], v[8:9]
	v_accvgpr_read_b32 v125, a21
	v_mov_b32_e32 v213, v251
	ds_write2_b64 v20, v[6:7], v[8:9] offset0:2 offset1:3
	v_pk_add_f32 v[6:7], v[208:209], v[4:5]
	v_pk_add_f32 v[8:9], v[124:125], v[4:5]
	;; [unrolled: 1-line block ×3, first 2 shown]
	v_mov_b32_e32 v221, v253
	v_mov_b32_e32 v211, v49
	v_accvgpr_read_b32 v129, a23
	v_pk_add_f32 v[4:5], v[212:213], v[4:5]
	v_mov_b32_e32 v207, v255
	v_mov_b32_e32 v219, v55
	v_pk_add_f32 v[6:7], v[210:211], v[6:7]
	v_pk_add_f32 v[8:9], v[128:129], v[8:9]
	v_accvgpr_read_b32 v159, a27
	v_pk_add_f32 v[4:5], v[220:221], v[4:5]
	v_mov_b32_e32 v225, v87
	v_pk_add_f32 v[80:81], v[240:241], v[242:243] neg_lo:[0,1] neg_hi:[0,1]
	v_pk_add_f32 v[88:89], v[240:241], v[242:243]
	v_mov_b32_e32 v223, v61
	v_pk_add_f32 v[6:7], v[218:219], v[6:7]
	v_pk_add_f32 v[8:9], v[158:159], v[8:9]
	v_accvgpr_read_b32 v167, a31
	v_pk_add_f32 v[4:5], v[206:207], v[4:5]
	v_mov_b32_e32 v81, v89
	v_mov_b32_e32 v227, v65
	v_pk_add_f32 v[48:49], v[232:233], v[238:239] neg_lo:[0,1] neg_hi:[0,1]
	v_pk_add_f32 v[50:51], v[232:233], v[238:239]
	v_pk_add_f32 v[6:7], v[222:223], v[6:7]
	;; [unrolled: 1-line block ×3, first 2 shown]
	v_accvgpr_read_b32 v173, a33
	v_pk_add_f32 v[4:5], v[224:225], v[4:5]
	v_mov_b32_e32 v235, v75
	v_mov_b32_e32 v49, v51
	v_pk_add_f32 v[6:7], v[226:227], v[6:7]
	v_pk_add_f32 v[8:9], v[172:173], v[8:9]
	v_accvgpr_read_b32 v177, a35
	v_pk_add_f32 v[4:5], v[80:81], v[4:5]
	v_mov_b32_e32 v237, v77
	v_mov_b32_e32 v245, v69
	v_pk_add_f32 v[6:7], v[48:49], v[6:7]
	v_pk_add_f32 v[8:9], v[176:177], v[8:9]
	v_accvgpr_read_b32 v181, a37
	v_pk_add_f32 v[4:5], v[234:235], v[4:5]
	v_mov_b32_e32 v247, v73
	v_pk_add_f32 v[6:7], v[244:245], v[6:7]
	v_pk_add_f32 v[8:9], v[180:181], v[8:9]
	v_mov_b32_e32 v185, v183
	v_pk_add_f32 v[4:5], v[236:237], v[4:5]
	v_pk_add_f32 v[6:7], v[246:247], v[6:7]
	;; [unrolled: 1-line block ×3, first 2 shown]
	ds_write2_b64 v20, v[4:5], v[58:59] offset0:6 offset1:7
	v_mov_b32_e32 v4, v102
	v_mov_b32_e32 v5, v118
	ds_write2_b64 v20, v[6:7], v[8:9] offset0:4 offset1:5
	ds_write2_b64 v20, v[4:5], v[122:123] offset0:8 offset1:9
	v_mov_b32_e32 v4, v119
	v_mov_b32_e32 v5, v103
	;; [unrolled: 1-line block ×4, first 2 shown]
	ds_write2_b64 v20, v[4:5], v[6:7] offset0:10 offset1:11
	v_mov_b32_e32 v4, v100
	v_mov_b32_e32 v5, v104
	ds_write2_b64 v20, v[40:41], v[4:5] offset0:12 offset1:13
	ds_write2_b64 v20, v[0:1], v[2:3] offset0:14 offset1:15
	ds_write_b64 v20, v[148:149] offset:128
.LBB0_7:
	s_or_b64 exec, exec, s[2:3]
	v_add_u32_e32 v4, 0x800, v84
	s_load_dwordx2 s[8:9], s[0:1], 0x20
	s_load_dwordx2 s[6:7], s[0:1], 0x8
	s_waitcnt lgkmcnt(0)
	s_barrier
	ds_read2_b64 v[32:35], v4 offset0:50 offset1:203
	v_add_u32_e32 v4, 0x1000, v84
	ds_read2_b64 v[28:31], v84 offset1:153
	ds_read2_b64 v[36:39], v4 offset0:100 offset1:253
	ds_read_b64 v[42:43], v84 offset:7344
	v_cmp_gt_u16_e64 s[2:3], 34, v144
	v_cmp_lt_u16_e32 vcc, 33, v144
	s_and_saveexec_b64 s[0:1], vcc
	s_xor_b64 s[0:1], exec, s[0:1]
	s_andn2_saveexec_b64 s[0:1], s[0:1]
	s_cbranch_execz .LBB0_9
; %bb.8:
	v_add_u32_e32 v4, 0x200, v84
	v_add_u32_e32 v8, 0xc00, v84
	v_add_u32_e32 v12, 0x1400, v84
	ds_read2_b64 v[4:7], v4 offset0:55 offset1:208
	ds_read2_b64 v[8:11], v8 offset0:41 offset1:194
	ds_read2_b64 v[12:15], v12 offset0:91 offset1:244
	ds_read_b64 v[16:17], v84 offset:8296
	s_waitcnt lgkmcnt(3)
	v_mov_b32_e32 v102, v6
	s_waitcnt lgkmcnt(2)
	v_mov_b32_e32 v103, v11
	v_mov_b32_e32 v118, v7
	;; [unrolled: 1-line block ×3, first 2 shown]
	s_waitcnt lgkmcnt(0)
	v_mov_b32_e32 v100, v16
	v_mov_b32_e32 v101, v13
	;; [unrolled: 1-line block ×4, first 2 shown]
	v_mov_b64_e32 v[40:41], v[14:15]
	v_mov_b64_e32 v[122:123], v[8:9]
	;; [unrolled: 1-line block ×3, first 2 shown]
.LBB0_9:
	s_or_b64 exec, exec, s[0:1]
	s_movk_i32 s0, 0xf1
	v_mul_lo_u16_sdwa v4, v144, s0 dst_sel:DWORD dst_unused:UNUSED_PAD src0_sel:BYTE_0 src1_sel:DWORD
	v_lshrrev_b16_e32 v85, 12, v4
	v_mul_lo_u16_e32 v4, 17, v85
	v_sub_u16_e32 v4, v144, v4
	v_and_b32_e32 v86, 0xff, v4
	v_mul_u32_u24_e32 v4, 6, v86
	v_lshlrev_b32_e32 v44, 3, v4
	v_add_u16_e32 v4, 0x77, v144
	v_mul_lo_u16_sdwa v5, v4, s0 dst_sel:DWORD dst_unused:UNUSED_PAD src0_sel:BYTE_0 src1_sel:DWORD
	v_lshrrev_b16_e32 v145, 12, v5
	v_mul_lo_u16_e32 v5, 17, v145
	v_sub_u16_e32 v4, v4, v5
	v_and_b32_e32 v4, 0xff, v4
	v_accvgpr_write_b32 a2, v4
	v_mul_u32_u24_e32 v4, 6, v4
	global_load_dwordx4 v[20:23], v44, s[6:7] offset:16
	global_load_dwordx4 v[16:19], v44, s[6:7]
	v_lshlrev_b32_e32 v45, 3, v4
	global_load_dwordx4 v[24:27], v44, s[6:7] offset:32
	global_load_dwordx4 v[4:7], v45, s[6:7]
	global_load_dwordx4 v[8:11], v45, s[6:7] offset:32
	global_load_dwordx4 v[12:15], v45, s[6:7] offset:16
	v_mov_b32_e32 v48, v103
	v_mov_b32_e32 v49, v122
	;; [unrolled: 1-line block ×10, first 2 shown]
	s_mov_b32 s20, 0x3d64c772
	s_mov_b32 s21, 0x3f4a47b2
	s_mov_b32 s22, s21
	s_mov_b32 s23, s20
	s_mov_b32 s28, 0xbf08b237
	s_mov_b32 s0, 0x3f5ff5aa
	s_mov_b32 s24, 0x3f955555
	s_mov_b32 s18, 0x3f3bfb3b
	s_mov_b32 s26, 0x3eae86e6
	s_mov_b32 s16, 0x3ee1c552
	s_load_dwordx4 s[8:11], s[8:9], 0x0
	s_waitcnt lgkmcnt(0)
	s_barrier
	s_waitcnt vmcnt(5)
	v_mul_f32_e32 v65, v37, v22
	s_waitcnt vmcnt(2)
	v_pk_mul_f32 v[68:69], v[122:123], v[6:7]
	s_waitcnt vmcnt(1)
	v_pk_mul_f32 v[70:71], v[40:41], v[8:9]
	v_mov_b32_e32 v64, v11
	v_mov_b32_e32 v74, v5
	s_waitcnt vmcnt(0)
	v_mov_b32_e32 v75, v13
	v_mov_b32_e32 v78, v13
	;; [unrolled: 1-line block ×7, first 2 shown]
	v_mul_f32_e32 v67, v36, v23
	v_mul_f32_e32 v45, v33, v19
	;; [unrolled: 1-line block ×3, first 2 shown]
	v_mov_b32_e32 v56, v5
	v_mov_b32_e32 v72, v4
	;; [unrolled: 1-line block ×11, first 2 shown]
	v_pk_mul_f32 v[70:71], v[100:101], v[64:65]
	v_pk_mul_f32 v[74:75], v[118:119], v[74:75]
	;; [unrolled: 1-line block ×5, first 2 shown]
	v_fma_f32 v60, v32, v18, -v45
	v_fma_f32 v62, v38, v24, -v51
	v_pk_mul_f32 v[56:57], v[102:103], v[56:57]
	v_pk_fma_f32 v[82:83], v[122:123], v[6:7], v[66:67] neg_lo:[0,0,1] neg_hi:[0,0,1]
	v_pk_fma_f32 v[40:41], v[40:41], v[8:9], v[68:69] neg_lo:[0,0,1] neg_hi:[0,0,1]
	v_pk_fma_f32 v[68:69], v[104:105], v[10:11], v[70:71]
	v_pk_fma_f32 v[70:71], v[102:103], v[72:73], v[74:75] neg_lo:[0,0,1] neg_hi:[0,0,1]
	v_pk_fma_f32 v[72:73], v[102:103], v[72:73], v[74:75]
	;; [unrolled: 2-line block ×5, first 2 shown]
	v_pk_fma_f32 v[56:57], v[118:119], v[4:5], v[56:57]
	v_mov_b32_e32 v71, v73
	v_mov_b32_e32 v45, v47
	;; [unrolled: 1-line block ×8, first 2 shown]
	v_pk_add_f32 v[74:75], v[56:57], v[68:69]
	v_pk_add_f32 v[76:77], v[82:83], v[40:41]
	v_pk_add_f32 v[40:41], v[46:47], v[50:51] neg_lo:[0,1] neg_hi:[0,1]
	v_pk_add_f32 v[46:47], v[44:45], v[48:49]
	v_pk_add_f32 v[50:51], v[70:71], v[52:53]
	v_mov_b32_e32 v54, v55
	v_mov_b32_e32 v55, v48
	;; [unrolled: 1-line block ×4, first 2 shown]
	v_pk_add_f32 v[44:45], v[54:55], v[48:49] neg_lo:[0,1] neg_hi:[0,1]
	v_pk_add_f32 v[48:49], v[76:77], v[50:51]
	v_mov_b32_e32 v77, v47
	v_mov_b32_e32 v72, v50
	;; [unrolled: 1-line block ×4, first 2 shown]
	v_pk_add_f32 v[72:73], v[76:77], v[72:73] neg_lo:[0,1] neg_hi:[0,1]
	v_mov_b32_e32 v78, v46
	v_mov_b32_e32 v79, v74
	;; [unrolled: 1-line block ×3, first 2 shown]
	v_pk_add_f32 v[54:55], v[54:55], v[74:75]
	v_pk_add_f32 v[74:75], v[78:79], v[76:77] neg_lo:[0,1] neg_hi:[0,1]
	v_pk_add_f32 v[76:77], v[50:51], v[46:47] neg_lo:[0,1] neg_hi:[0,1]
	v_pk_add_f32 v[46:47], v[46:47], v[48:49]
	v_mov_b32_e32 v57, v70
	v_mov_b32_e32 v47, v54
	;; [unrolled: 1-line block ×3, first 2 shown]
	v_pk_add_f32 v[48:49], v[50:51], v[46:47]
	v_pk_add_f32 v[52:53], v[56:57], v[68:69] neg_lo:[0,1] neg_hi:[0,1]
	v_pk_add_f32 v[80:81], v[44:45], v[40:41] neg_lo:[0,1] neg_hi:[0,1]
	v_pk_mul_f32 v[50:51], v[74:75], s[20:21]
	v_pk_mul_f32 v[54:55], v[76:77], s[22:23]
	v_pk_add_f32 v[56:57], v[40:41], v[52:53] neg_lo:[0,1] neg_hi:[0,1]
	v_mov_b32_e32 v47, v49
	v_pk_add_f32 v[78:79], v[44:45], v[40:41]
	v_pk_mul_f32 v[74:75], v[80:81], s[28:29] op_sel_hi:[1,0]
	v_pk_add_f32 v[44:45], v[52:53], v[44:45] neg_lo:[0,1] neg_hi:[0,1]
	v_pk_mul_f32 v[68:69], v[56:57], s[0:1] op_sel_hi:[1,0]
	v_pk_add_f32 v[40:41], v[58:59], v[46:47]
	v_mov_b32_e32 v48, v50
	v_mov_b32_e32 v49, v55
	;; [unrolled: 1-line block ×3, first 2 shown]
	v_pk_fma_f32 v[70:71], v[76:77], s[22:23], v[50:51]
	v_pk_add_f32 v[52:53], v[78:79], v[52:53]
	v_pk_fma_f32 v[46:47], v[46:47], s[24:25], v[40:41] op_sel_hi:[1,0,1] neg_lo:[1,0,0] neg_hi:[1,0,0]
	v_pk_fma_f32 v[48:49], v[72:73], s[18:19], v[48:49] op_sel_hi:[1,0,1] neg_lo:[0,0,1] neg_hi:[0,0,1]
	;; [unrolled: 1-line block ×3, first 2 shown]
	v_pk_fma_f32 v[54:55], v[44:45], s[26:27], v[74:75] op_sel_hi:[1,0,1]
	v_pk_fma_f32 v[56:57], v[56:57], s[0:1], v[74:75] op_sel_hi:[1,0,1] neg_lo:[0,0,1] neg_hi:[0,0,1]
	v_pk_fma_f32 v[44:45], v[44:45], s[26:27], v[68:69] op_sel_hi:[1,0,1] neg_lo:[1,0,1] neg_hi:[1,0,1]
	v_pk_add_f32 v[58:59], v[70:71], v[46:47]
	v_pk_add_f32 v[68:69], v[48:49], v[46:47]
	;; [unrolled: 1-line block ×3, first 2 shown]
	v_pk_fma_f32 v[50:51], v[52:53], s[16:17], v[54:55] op_sel_hi:[1,0,1]
	v_pk_fma_f32 v[54:55], v[52:53], s[16:17], v[56:57] op_sel_hi:[1,0,1]
	v_pk_fma_f32 v[44:45], v[52:53], s[16:17], v[44:45] op_sel_hi:[1,0,1]
	v_mov_b32_e32 v72, v18
	v_pk_add_f32 v[56:57], v[46:47], v[44:45]
	v_pk_add_f32 v[48:49], v[46:47], v[44:45] neg_lo:[0,1] neg_hi:[0,1]
	v_pk_add_f32 v[44:45], v[68:69], v[54:55] neg_lo:[0,1] neg_hi:[0,1]
	v_pk_add_f32 v[54:55], v[68:69], v[54:55]
	v_pk_mul_f32 v[68:69], v[30:31], v[16:17] op_sel_hi:[1,0]
	v_mov_b32_e32 v73, v22
	v_pk_fma_f32 v[70:71], v[30:31], v[16:17], v[68:69] op_sel:[0,1,1] op_sel_hi:[1,1,0]
	v_pk_fma_f32 v[30:31], v[30:31], v[16:17], v[68:69] op_sel:[0,1,1] op_sel_hi:[1,1,0] neg_lo:[1,0,0] neg_hi:[1,0,0]
	v_mov_b32_e32 v68, v33
	v_mov_b32_e32 v69, v36
	;; [unrolled: 1-line block ×5, first 2 shown]
	v_pk_mul_f32 v[32:33], v[32:33], v[36:37]
	v_mul_f32_e32 v61, v35, v20
	v_mul_f32_e32 v63, v34, v21
	v_pk_fma_f32 v[36:37], v[68:69], v[18:19], v[32:33]
	v_pk_fma_f32 v[32:33], v[68:69], v[72:73], v[32:33] neg_lo:[0,0,1] neg_hi:[0,0,1]
	v_mov_b32_e32 v68, v39
	v_mov_b32_e32 v69, v34
	;; [unrolled: 1-line block ×7, first 2 shown]
	v_pk_mul_f32 v[34:35], v[38:39], v[34:35]
	v_mov_b32_e32 v30, v27
	v_pk_fma_f32 v[38:39], v[68:69], v[24:25], v[34:35]
	v_pk_fma_f32 v[34:35], v[68:69], v[72:73], v[34:35] neg_lo:[0,0,1] neg_hi:[0,0,1]
	v_pk_mul_f32 v[68:69], v[42:43], v[26:27] op_sel_hi:[1,0]
	v_mov_b32_e32 v71, v31
	v_pk_fma_f32 v[72:73], v[42:43], v[30:31], v[68:69] op_sel:[0,0,1] op_sel_hi:[1,0,0]
	v_pk_fma_f32 v[42:43], v[42:43], v[30:31], v[68:69] op_sel:[0,0,1] op_sel_hi:[1,0,0] neg_lo:[1,0,0] neg_hi:[1,0,0]
	v_mov_b32_e32 v37, v33
	v_mov_b32_e32 v39, v35
	;; [unrolled: 1-line block ×11, first 2 shown]
	v_pk_add_f32 v[44:45], v[58:59], v[50:51] neg_lo:[0,1] neg_hi:[0,1]
	v_pk_add_f32 v[56:57], v[58:59], v[50:51]
	v_pk_add_f32 v[58:59], v[60:61], v[62:63]
	;; [unrolled: 1-line block ×3, first 2 shown]
	v_pk_add_f32 v[70:71], v[70:71], v[72:73] neg_lo:[0,1] neg_hi:[0,1]
	v_pk_add_f32 v[72:73], v[36:37], v[38:39]
	v_pk_add_f32 v[30:31], v[64:65], v[66:67]
	v_pk_add_f32 v[36:37], v[36:37], v[38:39] neg_lo:[0,1] neg_hi:[0,1]
	v_mov_b32_e32 v38, v31
	v_mov_b32_e32 v39, v60
	;; [unrolled: 1-line block ×8, first 2 shown]
	v_pk_add_f32 v[38:39], v[38:39], v[42:43] neg_lo:[0,1] neg_hi:[0,1]
	v_pk_add_f32 v[66:67], v[58:59], v[30:31]
	v_pk_add_f32 v[32:33], v[34:35], v[32:33]
	v_mov_b32_e32 v62, v38
	v_mov_b32_e32 v63, v71
	;; [unrolled: 1-line block ×7, first 2 shown]
	v_pk_add_f32 v[62:63], v[62:63], v[36:37] neg_lo:[0,1] neg_hi:[0,1]
	s_mov_b32 s29, s26
	v_pk_add_f32 v[34:35], v[34:35], v[58:59] neg_lo:[0,1] neg_hi:[0,1]
	v_mov_b32_e32 v31, v67
	v_mov_b32_e32 v74, v32
	;; [unrolled: 1-line block ×3, first 2 shown]
	v_pk_add_f32 v[32:33], v[66:67], v[32:33]
	v_pk_add_f32 v[42:43], v[42:43], v[38:39] neg_lo:[0,1] neg_hi:[0,1]
	s_mov_b32 s27, s28
	v_pk_mul_f32 v[62:63], v[62:63], s[28:29]
	v_pk_add_f32 v[64:65], v[36:37], v[38:39]
	v_pk_add_f32 v[74:75], v[30:31], v[74:75] neg_lo:[0,1] neg_hi:[0,1]
	v_pk_add_f32 v[28:29], v[28:29], v[32:33]
	v_pk_mul_f32 v[34:35], v[34:35], s[20:21]
	v_pk_mul_f32 v[60:61], v[42:43], s[26:27]
	v_pk_add_f32 v[64:65], v[64:65], v[70:71]
	v_pk_mul_f32 v[66:67], v[74:75], s[22:23]
	v_pk_fma_f32 v[32:33], v[32:33], s[24:25], v[28:29] op_sel_hi:[1,0,1] neg_lo:[1,0,0] neg_hi:[1,0,0]
	v_pk_fma_f32 v[74:75], v[74:75], s[22:23], v[34:35]
	v_pk_fma_f32 v[42:43], v[42:43], s[26:27], v[62:63]
	v_pk_add_f32 v[74:75], v[74:75], v[32:33]
	v_pk_fma_f32 v[42:43], v[64:65], s[16:17], v[42:43] op_sel_hi:[1,0,1]
	v_mov_b32_e32 v50, v44
	v_mul_u32_u24_e32 v44, 0x77, v85
	v_pk_add_f32 v[76:77], v[74:75], v[42:43]
	v_pk_add_f32 v[42:43], v[74:75], v[42:43] neg_lo:[0,1] neg_hi:[0,1]
	v_add_lshl_u32 v44, v44, v86, 3
	v_mov_b32_e32 v74, v76
	v_mov_b32_e32 v75, v43
	;; [unrolled: 1-line block ×5, first 2 shown]
	ds_write2_b64 v44, v[28:29], v[74:75] offset1:17
	v_pk_add_f32 v[28:29], v[36:37], v[70:71] neg_lo:[0,1] neg_hi:[0,1]
	v_pk_add_f32 v[30:31], v[58:59], v[30:31] neg_lo:[0,1] neg_hi:[0,1]
	v_mov_b32_e32 v36, v66
	v_mov_b32_e32 v37, v35
	v_mov_b32_e32 v38, v60
	v_mov_b32_e32 v39, v63
	v_mov_b32_e32 v35, v67
	v_mov_b32_e32 v63, v61
	v_pk_fma_f32 v[36:37], v[30:31], s[18:19], v[36:37] op_sel_hi:[1,0,1] neg_lo:[1,0,1] neg_hi:[1,0,1]
	v_pk_fma_f32 v[38:39], v[28:29], s[0:1], v[38:39] op_sel_hi:[1,0,1] neg_lo:[1,0,1] neg_hi:[1,0,1]
	;; [unrolled: 1-line block ×4, first 2 shown]
	v_pk_add_f32 v[36:37], v[36:37], v[32:33]
	v_pk_fma_f32 v[38:39], v[64:65], s[16:17], v[38:39] op_sel_hi:[1,0,1]
	v_pk_add_f32 v[30:31], v[30:31], v[32:33]
	v_pk_fma_f32 v[28:29], v[64:65], s[16:17], v[28:29] op_sel_hi:[1,0,1]
	v_pk_add_f32 v[58:59], v[36:37], v[38:39]
	v_pk_add_f32 v[36:37], v[36:37], v[38:39] neg_lo:[0,1] neg_hi:[0,1]
	v_pk_add_f32 v[32:33], v[30:31], v[28:29] neg_lo:[0,1] neg_hi:[0,1]
	v_pk_add_f32 v[28:29], v[30:31], v[28:29]
	v_mov_b32_e32 v51, v57
	v_mov_b32_e32 v38, v58
	;; [unrolled: 1-line block ×8, first 2 shown]
	v_accvgpr_write_b32 a3, v44
	ds_write2_b64 v44, v[38:39], v[30:31] offset0:34 offset1:51
	ds_write2_b64 v44, v[28:29], v[36:37] offset0:68 offset1:85
	ds_write_b64 v44, v[42:43] offset:816
	s_and_saveexec_b64 s[0:1], s[2:3]
	s_cbranch_execz .LBB0_11
; %bb.10:
	v_mul_u32_u24_e32 v28, 0x77, v145
	v_accvgpr_read_b32 v29, a2
	v_add_lshl_u32 v28, v28, v29, 3
	v_mov_b32_e32 v57, v45
	ds_write2_b64 v28, v[40:41], v[56:57] offset1:17
	ds_write2_b64 v28, v[46:47], v[52:53] offset0:34 offset1:51
	ds_write2_b64 v28, v[54:55], v[48:49] offset0:68 offset1:85
	ds_write_b64 v28, v[50:51] offset:816
.LBB0_11:
	s_or_b64 exec, exec, s[0:1]
	v_lshlrev_b32_e32 v44, 6, v144
	s_waitcnt lgkmcnt(0)
	s_barrier
	global_load_dwordx4 v[36:39], v44, s[6:7] offset:832
	global_load_dwordx4 v[32:35], v44, s[6:7] offset:848
	;; [unrolled: 1-line block ×4, first 2 shown]
	v_add_u32_e32 v63, 0x800, v84
	ds_read2_b64 v[56:59], v84 offset0:119 offset1:238
	v_add_u32_e32 v62, 0x1800, v84
	v_add_u32_e32 v76, 0x1000, v84
	ds_read_b64 v[60:61], v84
	ds_read2_b64 v[64:67], v63 offset0:101 offset1:220
	ds_read2_b64 v[68:71], v76 offset0:83 offset1:202
	;; [unrolled: 1-line block ×3, first 2 shown]
	s_mov_b32 s16, 0x3f248dbb
	s_mov_b32 s17, 0x3f7c1c5c
	s_waitcnt lgkmcnt(2)
	v_mov_b32_e32 v45, v66
	s_waitcnt lgkmcnt(1)
	v_mov_b32_e32 v77, v68
	s_mov_b32 s6, 0x3f5db3d7
	s_mov_b32 s18, s17
	;; [unrolled: 1-line block ×7, first 2 shown]
	s_waitcnt vmcnt(3)
	v_pk_mul_f32 v[78:79], v[66:67], v[38:39]
	v_mov_b32_e32 v81, v38
	v_pk_mul_f32 v[44:45], v[44:45], v[38:39]
	s_waitcnt vmcnt(2)
	v_pk_mul_f32 v[88:89], v[76:77], v[32:33]
	v_mov_b32_e32 v80, v35
	v_pk_mul_f32 v[82:83], v[68:69], v[32:33]
	s_waitcnt vmcnt(1)
	v_pk_mul_f32 v[90:91], v[56:57], v[40:41] op_sel:[0,1]
	v_pk_mul_f32 v[92:93], v[58:59], v[42:43] op_sel_hi:[1,0]
	v_mov_b32_e32 v44, v43
	v_mov_b32_e32 v78, v43
	v_pk_mul_f32 v[94:95], v[64:65], v[36:37] op_sel:[0,1]
	s_waitcnt vmcnt(0)
	v_mov_b32_e32 v88, v31
	v_pk_mul_f32 v[100:101], v[66:67], v[80:81]
	v_mov_b32_e32 v85, v32
	s_waitcnt lgkmcnt(0)
	v_pk_mul_f32 v[96:97], v[72:73], v[28:29] op_sel_hi:[1,0]
	v_mov_b32_e32 v82, v29
	v_mov_b32_e32 v98, v79
	;; [unrolled: 1-line block ×3, first 2 shown]
	v_pk_fma_f32 v[104:105], v[56:57], v[40:41], v[90:91] op_sel:[1,0,0] op_sel_hi:[0,1,1]
	v_pk_fma_f32 v[56:57], v[56:57], v[40:41], v[90:91] op_sel:[1,0,0] op_sel_hi:[0,0,1] neg_lo:[0,0,1] neg_hi:[0,0,1]
	v_pk_fma_f32 v[90:91], v[58:59], v[44:45], v[92:93] op_sel:[0,0,1] op_sel_hi:[1,1,0]
	v_pk_fma_f32 v[58:59], v[58:59], v[78:79], v[92:93] op_sel:[0,0,1] op_sel_hi:[1,0,0] neg_lo:[1,0,0] neg_hi:[1,0,0]
	v_pk_fma_f32 v[78:79], v[64:65], v[36:37], v[94:95] op_sel:[0,0,1] op_sel_hi:[1,1,0] neg_lo:[0,0,1] neg_hi:[0,0,1]
	v_pk_fma_f32 v[64:65], v[64:65], v[36:37], v[94:95] op_sel:[0,0,1] op_sel_hi:[1,0,0]
	v_pk_mul_f32 v[80:81], v[70:71], v[80:81] op_sel_hi:[1,0]
	v_pk_mul_f32 v[92:93], v[74:75], v[88:89] op_sel_hi:[1,0]
	v_pk_mul_f32 v[102:103], v[68:69], v[84:85]
	v_pk_fma_f32 v[82:83], v[72:73], v[82:83], v[96:97] op_sel:[0,0,1] op_sel_hi:[1,1,0]
	v_pk_fma_f32 v[72:73], v[72:73], v[28:29], v[96:97] op_sel:[0,1,1] op_sel_hi:[1,1,0] neg_lo:[1,0,0] neg_hi:[1,0,0]
	v_pk_fma_f32 v[94:95], v[66:67], v[38:39], v[98:99] neg_lo:[0,0,1] neg_hi:[0,0,1]
	v_pk_fma_f32 v[96:97], v[68:69], v[32:33], v[100:101] neg_lo:[0,0,1] neg_hi:[0,0,1]
	v_mov_b32_e32 v79, v65
	v_pk_fma_f32 v[64:65], v[70:71], v[34:35], v[80:81] op_sel:[0,0,1] op_sel_hi:[1,1,0] neg_lo:[0,0,1] neg_hi:[0,0,1]
	v_pk_fma_f32 v[66:67], v[70:71], v[34:35], v[80:81] op_sel:[0,0,1] op_sel_hi:[1,0,0]
	v_pk_fma_f32 v[68:69], v[74:75], v[30:31], v[92:93] op_sel:[1,0,0] op_sel_hi:[0,1,1]
	v_pk_fma_f32 v[70:71], v[74:75], v[30:31], v[92:93] op_sel:[1,0,0] op_sel_hi:[0,0,1] neg_lo:[0,0,1] neg_hi:[0,0,1]
	v_mov_b32_e32 v105, v57
	v_mov_b32_e32 v91, v59
	v_mov_b32_e32 v83, v73
	v_mov_b32_e32 v100, v59
	v_mov_b32_e32 v44, v73
	v_mov_b32_e32 v69, v71
	v_mov_b32_e32 v102, v57
	v_mov_b32_e32 v65, v67
	v_mov_b32_e32 v88, v71
	v_pk_add_f32 v[56:57], v[100:101], v[44:45]
	v_pk_add_f32 v[44:45], v[90:91], v[82:83]
	v_pk_add_f32 v[72:73], v[90:91], v[82:83] neg_lo:[0,1] neg_hi:[0,1]
	v_pk_add_f32 v[82:83], v[104:105], v[68:69] neg_lo:[0,1] neg_hi:[0,1]
	v_pk_add_f32 v[74:75], v[102:103], v[88:89]
	v_pk_add_f32 v[80:81], v[78:79], v[64:65]
	v_pk_add_f32 v[64:65], v[78:79], v[64:65] neg_lo:[0,1] neg_hi:[0,1]
	v_mov_b32_e32 v78, v72
	v_mov_b32_e32 v79, v83
	;; [unrolled: 1-line block ×4, first 2 shown]
	v_pk_add_f32 v[70:71], v[104:105], v[68:69]
	v_mov_b32_e32 v69, v73
	v_mov_b32_e32 v58, v57
	v_pk_mul_f32 v[88:89], v[64:65], s[6:7] op_sel_hi:[1,0]
	v_mov_b32_e32 v68, v82
	v_mov_b32_e32 v66, v75
	v_pk_mul_f32 v[64:65], v[78:79], s[18:19]
	v_pk_add_f32 v[78:79], v[58:59], v[66:67] neg_lo:[0,1] neg_hi:[0,1]
	v_pk_fma_f32 v[58:59], v[68:69], s[16:17], v[64:65]
	v_mov_b32_e32 v90, v74
	v_pk_add_f32 v[58:59], v[88:89], v[58:59] op_sel:[1,0] op_sel_hi:[0,1]
	v_mov_b32_e32 v91, v70
	s_mov_b32 s16, 0x3f441b7d
	v_pk_fma_f32 v[64:65], v[78:79], s[0:1], v[58:59] op_sel_hi:[1,0,1]
	v_pk_fma_f32 v[58:59], v[90:91], s[16:17], v[60:61] op_sel_hi:[1,0,1]
	v_mov_b32_e32 v92, v56
	v_mov_b32_e32 v93, v44
	s_mov_b32 s18, 0x3e31d0d4
	v_mov_b32_e32 v95, v44
	v_mov_b32_e32 v97, v70
	v_pk_fma_f32 v[58:59], v[92:93], s[18:19], v[58:59] op_sel_hi:[1,0,1]
	v_pk_add_f32 v[98:99], v[56:57], v[74:75]
	v_pk_add_f32 v[100:101], v[94:95], v[96:97]
	v_pk_fma_f32 v[58:59], v[80:81], 0.5, v[58:59] op_sel_hi:[1,0,1] neg_lo:[1,0,0] neg_hi:[1,0,0]
	v_mov_b32_e32 v102, v100
	v_mov_b32_e32 v103, v99
	v_pk_fma_f32 v[44:45], v[102:103], s[20:21], v[58:59] op_sel_hi:[1,0,1] neg_lo:[1,0,0] neg_hi:[1,0,0]
	v_add_f32_e32 v105, v65, v65
	v_pk_add_f32 v[68:69], v[44:45], v[64:65]
	v_pk_add_f32 v[70:71], v[44:45], v[64:65] neg_lo:[0,1] neg_hi:[0,1]
	v_add_f32_e32 v44, v64, v64
	v_pk_mul_f32 v[64:65], v[78:79], s[22:23] op_sel_hi:[1,0]
	v_pk_add_f32 v[118:119], v[98:99], v[100:101]
	v_pk_fma_f32 v[64:65], v[82:83], s[24:25], v[64:65] op_sel_hi:[1,0,1]
	v_mov_b32_e32 v99, v101
	v_pk_add_f32 v[64:65], v[64:65], v[88:89] op_sel:[0,1] op_sel_hi:[1,0] neg_lo:[0,1] neg_hi:[0,1]
	v_pk_add_f32 v[98:99], v[80:81], v[98:99]
	v_pk_fma_f32 v[66:67], v[72:73], s[0:1], v[64:65] op_sel_hi:[1,0,1]
	v_pk_fma_f32 v[64:65], v[102:103], s[16:17], v[60:61] op_sel_hi:[1,0,1]
	v_mov_b32_e32 v95, v57
	v_pk_fma_f32 v[64:65], v[90:91], s[18:19], v[64:65] op_sel_hi:[1,0,1]
	v_pk_add_f32 v[56:57], v[94:95], v[98:99]
	v_pk_fma_f32 v[64:65], v[80:81], 0.5, v[64:65] op_sel_hi:[1,0,1] neg_lo:[1,0,0] neg_hi:[1,0,0]
	v_mov_b32_e32 v97, v75
	v_pk_fma_f32 v[64:65], v[92:93], s[20:21], v[64:65] op_sel_hi:[1,0,1] neg_lo:[1,0,0] neg_hi:[1,0,0]
	v_pk_add_f32 v[56:57], v[96:97], v[56:57]
	v_pk_add_f32 v[106:107], v[64:65], v[66:67]
	v_pk_add_f32 v[108:109], v[64:65], v[66:67] neg_lo:[0,1] neg_hi:[0,1]
	v_add_f32_e32 v110, v66, v66
	v_add_f32_e32 v113, v67, v67
	v_pk_add_f32 v[66:67], v[78:79], v[82:83]
	v_pk_add_f32 v[116:117], v[80:81], v[60:61]
	;; [unrolled: 1-line block ×3, first 2 shown]
	v_pk_mul_f32 v[74:75], v[78:79], s[24:25] op_sel_hi:[1,0]
	v_pk_fma_f32 v[60:61], v[92:93], s[16:17], v[60:61] op_sel_hi:[1,0,1]
	v_pk_add_f32 v[66:67], v[66:67], v[72:73] neg_lo:[0,1] neg_hi:[0,1]
	v_pk_fma_f32 v[72:73], v[72:73], s[22:23], v[74:75] op_sel_hi:[1,0,1] neg_lo:[0,0,1] neg_hi:[0,0,1]
	v_pk_fma_f32 v[60:61], v[102:103], s[18:19], v[60:61] op_sel_hi:[1,0,1]
	v_pk_add_f32 v[72:73], v[88:89], v[72:73] op_sel:[1,0] op_sel_hi:[0,1]
	v_pk_fma_f32 v[60:61], v[80:81], 0.5, v[60:61] op_sel_hi:[1,0,1] neg_lo:[1,0,0] neg_hi:[1,0,0]
	v_pk_fma_f32 v[116:117], v[118:119], 0.5, v[116:117] op_sel_hi:[1,0,1] neg_lo:[1,0,0] neg_hi:[1,0,0]
	v_mov_b32_e32 v104, v68
	v_mov_b32_e32 v45, v71
	v_pk_fma_f32 v[78:79], v[82:83], s[0:1], v[72:73] op_sel_hi:[1,0,1]
	v_pk_fma_f32 v[60:61], v[90:91], s[20:21], v[60:61] op_sel_hi:[1,0,1] neg_lo:[1,0,0] neg_hi:[1,0,0]
	v_mov_b32_e32 v58, v68
	v_pk_mul_f32 v[114:115], v[66:67], s[6:7] op_sel_hi:[1,0]
	v_pk_fma_f32 v[118:119], v[66:67], s[6:7], v[116:117] op_sel_hi:[1,0,1]
	v_pk_fma_f32 v[116:117], v[66:67], s[6:7], v[116:117] op_sel_hi:[1,0,1] neg_lo:[1,0,0] neg_hi:[1,0,0]
	v_pk_add_f32 v[44:45], v[68:69], v[44:45] neg_lo:[0,1] neg_hi:[0,1]
	v_pk_add_f32 v[68:69], v[104:105], v[70:71]
	v_mov_b32_e32 v112, v106
	v_mov_b32_e32 v111, v109
	v_pk_add_f32 v[72:73], v[60:61], v[78:79]
	v_pk_add_f32 v[74:75], v[60:61], v[78:79] neg_lo:[0,1] neg_hi:[0,1]
	v_mov_b32_e32 v59, v71
	v_mov_b32_e32 v64, v106
	;; [unrolled: 1-line block ×5, first 2 shown]
	v_add_f32_e32 v114, v114, v114
	v_add_f32_e32 v121, v115, v115
	v_mov_b32_e32 v45, v69
	v_pk_add_f32 v[70:71], v[106:107], v[110:111] neg_lo:[0,1] neg_hi:[0,1]
	v_pk_add_f32 v[68:69], v[112:113], v[108:109]
	v_mov_b32_e32 v120, v118
	v_mov_b32_e32 v115, v117
	;; [unrolled: 1-line block ×3, first 2 shown]
	v_add_u32_e32 v60, 0x400, v84
	v_mov_b32_e32 v71, v69
	v_pk_add_f32 v[68:69], v[118:119], v[114:115] neg_lo:[0,1] neg_hi:[0,1]
	v_pk_add_f32 v[104:105], v[120:121], v[116:117]
	v_mov_b32_e32 v73, v75
	v_fmac_f32_e32 v74, -2.0, v78
	v_fmac_f32_e32 v75, 2.0, v79
	ds_write_b64 v84, v[56:57]
	ds_write_b64 v84, v[58:59] offset:952
	ds_write2_b64 v60, v[64:65], v[66:67] offset0:110 offset1:229
	v_add_u32_e32 v60, 0xc00, v84
	v_mov_b32_e32 v69, v105
	ds_write2_b64 v60, v[72:73], v[74:75] offset0:92 offset1:211
	v_add_u32_e32 v60, 0x1400, v84
	ds_write2_b64 v60, v[68:69], v[70:71] offset0:74 offset1:193
	ds_write_b64 v84, v[44:45] offset:7616
	s_waitcnt lgkmcnt(0)
	s_barrier
	s_and_saveexec_b64 s[0:1], s[4:5]
	s_cbranch_execz .LBB0_13
; %bb.12:
	v_mov_b32_e32 v85, 0
	v_lshl_add_u64 v[60:61], s[12:13], 0, v[84:85]
	v_add_co_u32_e32 v78, vcc, 0x2000, v60
	s_mov_b64 s[6:7], 0x2178
	s_nop 0
	v_addc_co_u32_e32 v79, vcc, 0, v61, vcc
	global_load_dwordx2 v[78:79], v[78:79], off offset:376
	v_lshl_add_u64 v[80:81], v[60:61], 0, s[6:7]
	global_load_dwordx2 v[82:83], v[80:81], off offset:504
	global_load_dwordx2 v[88:89], v[80:81], off offset:1008
	;; [unrolled: 1-line block ×8, first 2 shown]
	s_movk_i32 s6, 0x3000
	v_add_co_u32_e32 v80, vcc, s6, v60
	s_nop 1
	v_addc_co_u32_e32 v81, vcc, 0, v61, vcc
	global_load_dwordx2 v[122:123], v[80:81], off offset:816
	global_load_dwordx2 v[124:125], v[80:81], off offset:1320
	;; [unrolled: 1-line block ×6, first 2 shown]
	v_add_co_u32_e32 v60, vcc, 0x4000, v60
	global_load_dwordx2 v[134:135], v[80:81], off offset:3840
	s_nop 0
	v_addc_co_u32_e32 v61, vcc, 0, v61, vcc
	global_load_dwordx2 v[60:61], v[60:61], off offset:248
	ds_read_b64 v[90:91], v84
	s_waitcnt vmcnt(16) lgkmcnt(0)
	v_mul_f32_e32 v77, v91, v79
	v_mul_f32_e32 v81, v90, v79
	v_fma_f32 v80, v90, v78, -v77
	v_fmac_f32_e32 v81, v91, v78
	ds_write_b64 v84, v[80:81]
	ds_read2_b64 v[78:81], v84 offset0:63 offset1:126
	ds_read2_b64 v[90:93], v84 offset0:189 offset1:252
	;; [unrolled: 1-line block ×6, first 2 shown]
	s_waitcnt vmcnt(15) lgkmcnt(5)
	v_mul_f32_e32 v77, v79, v83
	v_mul_f32_e32 v137, v78, v83
	s_waitcnt vmcnt(14)
	v_mul_f32_e32 v85, v81, v89
	v_mul_f32_e32 v83, v80, v89
	s_waitcnt vmcnt(13) lgkmcnt(4)
	v_mul_f32_e32 v86, v91, v111
	v_mul_f32_e32 v89, v90, v111
	s_waitcnt vmcnt(12)
	v_mul_f32_e32 v87, v93, v113
	v_mul_f32_e32 v111, v92, v113
	;; [unrolled: 6-line block ×5, first 2 shown]
	v_fma_f32 v136, v78, v82, -v77
	v_fmac_f32_e32 v137, v79, v82
	v_fma_f32 v82, v80, v88, -v85
	v_fmac_f32_e32 v83, v81, v88
	;; [unrolled: 2-line block ×10, first 2 shown]
	ds_write2_b64 v84, v[136:137], v[82:83] offset0:63 offset1:126
	ds_write2_b64 v84, v[88:89], v[110:111] offset0:189 offset1:252
	;; [unrolled: 1-line block ×5, first 2 shown]
	ds_read2_b64 v[78:81], v62 offset0:51 offset1:114
	s_waitcnt vmcnt(5) lgkmcnt(6)
	v_mul_f32_e32 v125, v107, v127
	v_mul_f32_e32 v83, v106, v127
	s_waitcnt vmcnt(4)
	v_mul_f32_e32 v63, v109, v129
	v_mul_f32_e32 v89, v108, v129
	v_fma_f32 v82, v106, v126, -v125
	v_fmac_f32_e32 v83, v107, v126
	v_fma_f32 v88, v108, v128, -v63
	v_fmac_f32_e32 v89, v109, v128
	ds_write2_b64 v76, v[82:83], v[88:89] offset0:181 offset1:244
	s_waitcnt vmcnt(3) lgkmcnt(1)
	v_mul_f32_e32 v63, v79, v131
	v_mul_f32_e32 v83, v78, v131
	v_fma_f32 v82, v78, v130, -v63
	v_fmac_f32_e32 v83, v79, v130
	ds_read2_b64 v[76:79], v62 offset0:177 offset1:240
	s_waitcnt vmcnt(2)
	v_mul_f32_e32 v63, v81, v133
	v_mul_f32_e32 v89, v80, v133
	v_fma_f32 v88, v80, v132, -v63
	v_fmac_f32_e32 v89, v81, v132
	s_waitcnt vmcnt(1) lgkmcnt(0)
	v_mul_f32_e32 v63, v77, v135
	v_mul_f32_e32 v81, v76, v135
	v_fma_f32 v80, v76, v134, -v63
	v_fmac_f32_e32 v81, v77, v134
	s_waitcnt vmcnt(0)
	v_mul_f32_e32 v63, v79, v61
	v_mul_f32_e32 v77, v78, v61
	v_fma_f32 v76, v78, v60, -v63
	v_fmac_f32_e32 v77, v79, v60
	ds_write2_b64 v62, v[82:83], v[88:89] offset0:51 offset1:114
	ds_write2_b64 v62, v[80:81], v[76:77] offset0:177 offset1:240
.LBB0_13:
	s_or_b64 exec, exec, s[0:1]
	s_waitcnt lgkmcnt(0)
	s_barrier
	s_and_saveexec_b64 s[0:1], s[4:5]
	s_cbranch_execz .LBB0_15
; %bb.14:
	v_add_u32_e32 v0, 0x400, v84
	ds_read2_b64 v[56:59], v84 offset1:63
	ds_read2_b64 v[64:67], v84 offset0:126 offset1:189
	ds_read2_b64 v[72:75], v0 offset0:124 offset1:187
	v_add_u32_e32 v0, 0x800, v84
	ds_read2_b64 v[68:71], v0 offset0:122 offset1:185
	v_add_u32_e32 v0, 0xc00, v84
	ds_read2_b64 v[44:47], v0 offset0:120 offset1:183
	v_add_u32_e32 v0, 0x1000, v84
	ds_read2_b64 v[52:55], v0 offset0:118 offset1:181
	v_add_u32_e32 v0, 0x1400, v84
	ds_read2_b64 v[48:51], v0 offset0:116 offset1:179
	v_add_u32_e32 v0, 0x1800, v84
	ds_read2_b64 v[0:3], v0 offset0:114 offset1:177
	ds_read_b64 v[148:149], v84 offset:8064
.LBB0_15:
	s_or_b64 exec, exec, s[0:1]
	s_waitcnt lgkmcnt(0)
	v_pk_add_f32 v[134:135], v[148:149], v[58:59]
	v_pk_add_f32 v[138:139], v[58:59], v[148:149] neg_lo:[0,1] neg_hi:[0,1]
	s_mov_b32 s16, 0xbf7ee86f
	s_mov_b32 s20, 0xbf7ba420
	v_pk_add_f32 v[82:83], v[64:65], v[2:3] neg_lo:[0,1] neg_hi:[0,1]
	v_pk_add_f32 v[76:77], v[64:65], v[2:3]
	v_mov_b32_e32 v80, v139
	v_mov_b32_e32 v81, v135
	s_mov_b32 s17, 0x3dbcf732
	s_mov_b32 s21, 0xbe3c28d5
	v_mov_b32_e32 v136, v83
	v_mov_b32_e32 v137, v77
	v_pk_mul_f32 v[94:95], v[80:81], s[16:17]
	v_mov_b32_e32 v220, v134
	v_mov_b32_e32 v221, v138
	s_mov_b32 s0, s17
	s_mov_b32 s1, s16
	;; [unrolled: 1-line block ×4, first 2 shown]
	v_mov_b32_e32 v92, v76
	v_mov_b32_e32 v93, v82
	v_pk_fma_f32 v[60:61], v[220:221], s[0:1], v[94:95] neg_lo:[0,0,1] neg_hi:[0,0,1]
	v_pk_fma_f32 v[98:99], v[220:221], s[0:1], v[94:95]
	v_pk_mul_f32 v[108:109], v[136:137], s[46:47]
	v_mov_b32_e32 v61, v99
	v_pk_fma_f32 v[62:63], v[92:93], s[20:21], v[108:109] neg_lo:[0,0,1] neg_hi:[0,0,1]
	v_pk_fma_f32 v[110:111], v[92:93], s[20:21], v[108:109]
	s_mov_b32 s39, 0x3f763a35
	v_pk_add_f32 v[128:129], v[66:67], v[0:1] neg_lo:[0,1] neg_hi:[0,1]
	v_pk_add_f32 v[60:61], v[56:57], v[60:61]
	v_mov_b32_e32 v63, v111
	s_mov_b32 s24, 0xbe8c1d8e
	s_mov_b32 s6, s39
	v_pk_add_f32 v[126:127], v[0:1], v[66:67]
	v_pk_add_f32 v[60:61], v[62:63], v[60:61]
	s_mov_b32 s25, 0xbf763a35
	v_pk_mul_f32 v[62:63], v[128:129], s[6:7] op_sel_hi:[1,0]
	v_pk_add_f32 v[124:125], v[72:73], v[50:51] neg_lo:[0,1] neg_hi:[0,1]
	v_pk_fma_f32 v[78:79], v[126:127], s[24:25], v[62:63] op_sel:[0,0,1] op_sel_hi:[1,0,0] neg_lo:[0,0,1] neg_hi:[0,0,1]
	v_pk_fma_f32 v[122:123], v[126:127], s[24:25], v[62:63] op_sel:[0,0,1] op_sel_hi:[1,0,0]
	v_mov_b32_e32 v62, v78
	v_mov_b32_e32 v63, v123
	s_mov_b32 s34, 0x3eb8f4ab
	v_pk_add_f32 v[118:119], v[50:51], v[72:73]
	v_pk_add_f32 v[60:61], v[62:63], v[60:61]
	s_mov_b32 s22, 0x3f6eb680
	v_pk_mul_f32 v[62:63], v[124:125], s[34:35] op_sel_hi:[1,0]
	v_accvgpr_write_b32 a5, v79
	v_pk_fma_f32 v[78:79], v[118:119], s[22:23], v[62:63] op_sel:[0,0,1] op_sel_hi:[1,0,0] neg_lo:[0,0,1] neg_hi:[0,0,1]
	v_pk_fma_f32 v[132:133], v[118:119], s[22:23], v[62:63] op_sel:[0,0,1] op_sel_hi:[1,0,0]
	v_pk_add_f32 v[116:117], v[74:75], v[48:49] neg_lo:[0,1] neg_hi:[0,1]
	v_mov_b32_e32 v62, v78
	v_mov_b32_e32 v63, v133
	s_mov_b32 s36, 0xbf65296c
	v_pk_add_f32 v[114:115], v[48:49], v[74:75]
	v_pk_add_f32 v[60:61], v[62:63], v[60:61]
	s_mov_b32 s30, 0x3ee437d1
	v_pk_mul_f32 v[62:63], v[116:117], s[36:37] op_sel_hi:[1,0]
	v_accvgpr_write_b32 a7, v79
	v_pk_fma_f32 v[78:79], v[114:115], s[30:31], v[62:63] op_sel:[0,0,1] op_sel_hi:[1,0,0] neg_lo:[0,0,1] neg_hi:[0,0,1]
	v_pk_fma_f32 v[142:143], v[114:115], s[30:31], v[62:63] op_sel:[0,0,1] op_sel_hi:[1,0,0]
	v_pk_add_f32 v[112:113], v[68:69], v[54:55] neg_lo:[0,1] neg_hi:[0,1]
	v_mov_b32_e32 v62, v78
	v_mov_b32_e32 v63, v143
	s_mov_b32 s26, 0xbf59a7d5
	s_mov_b32 s28, 0xbf06c442
	v_pk_add_f32 v[106:107], v[54:55], v[68:69]
	v_pk_add_f32 v[60:61], v[62:63], v[60:61]
	s_mov_b32 s27, 0x3f06c442
	v_pk_mul_f32 v[62:63], v[112:113], s[28:29] op_sel_hi:[1,0]
	v_accvgpr_write_b32 a9, v79
	v_pk_fma_f32 v[78:79], v[106:107], s[26:27], v[62:63] op_sel:[0,0,1] op_sel_hi:[1,0,0] neg_lo:[0,0,1] neg_hi:[0,0,1]
	v_pk_fma_f32 v[146:147], v[106:107], s[26:27], v[62:63] op_sel:[0,0,1] op_sel_hi:[1,0,0]
	s_mov_b32 s42, 0xbf4c4adb
	v_pk_add_f32 v[104:105], v[70:71], v[52:53] neg_lo:[0,1] neg_hi:[0,1]
	v_mov_b32_e32 v62, v78
	v_mov_b32_e32 v63, v147
	s_mov_b32 s43, 0xbf1a4643
	s_mov_b32 s58, 0x3f4c4adb
	v_pk_add_f32 v[102:103], v[52:53], v[70:71]
	v_pk_add_f32 v[60:61], v[62:63], v[60:61]
	s_mov_b32 s52, s43
	v_pk_mul_f32 v[62:63], v[104:105], s[58:59] op_sel_hi:[1,0]
	v_accvgpr_write_b32 a11, v79
	v_pk_fma_f32 v[78:79], v[102:103], s[52:53], v[62:63] op_sel:[0,0,1] op_sel_hi:[1,0,0] neg_lo:[0,0,1] neg_hi:[0,0,1]
	v_pk_fma_f32 v[150:151], v[102:103], s[52:53], v[62:63] op_sel:[0,0,1] op_sel_hi:[1,0,0]
	v_pk_add_f32 v[100:101], v[44:45], v[46:47] neg_lo:[0,1] neg_hi:[0,1]
	v_mov_b32_e32 v62, v78
	v_mov_b32_e32 v63, v151
	s_mov_b32 s40, 0x3f2c7751
	v_pk_add_f32 v[96:97], v[46:47], v[44:45]
	v_pk_add_f32 v[60:61], v[62:63], v[60:61]
	s_mov_b32 s6, 0x3f3d2fb0
	v_pk_mul_f32 v[62:63], v[100:101], s[40:41] op_sel_hi:[1,0]
	s_mov_b32 s18, s25
	v_pk_fma_f32 v[152:153], v[96:97], s[6:7], v[62:63] op_sel:[0,0,1] op_sel_hi:[1,0,0] neg_lo:[0,0,1] neg_hi:[0,0,1]
	v_pk_fma_f32 v[154:155], v[96:97], s[6:7], v[62:63] op_sel:[0,0,1] op_sel_hi:[1,0,0]
	s_mov_b32 s19, s24
	v_mov_b32_e32 v62, v152
	v_mov_b32_e32 v63, v155
	v_pk_mul_f32 v[156:157], v[80:81], s[18:19]
	s_mov_b32 s18, s27
	s_mov_b32 s19, s26
	v_pk_add_f32 v[62:63], v[62:63], v[60:61]
	v_pk_fma_f32 v[60:61], v[220:221], s[24:25], v[156:157] neg_lo:[0,0,1] neg_hi:[0,0,1]
	v_pk_fma_f32 v[158:159], v[220:221], s[24:25], v[156:157]
	v_pk_mul_f32 v[160:161], v[136:137], s[18:19]
	v_accvgpr_write_b32 a13, v79
	v_mov_b32_e32 v61, v159
	v_pk_fma_f32 v[78:79], v[92:93], s[26:27], v[160:161] neg_lo:[0,0,1] neg_hi:[0,0,1]
	v_pk_fma_f32 v[162:163], v[92:93], s[26:27], v[160:161]
	v_pk_add_f32 v[60:61], v[56:57], v[60:61]
	v_mov_b32_e32 v79, v163
	v_pk_add_f32 v[60:61], v[78:79], v[60:61]
	v_pk_mul_f32 v[78:79], v[128:129], s[40:41] op_sel_hi:[1,0]
	s_mov_b32 s60, s21
	v_pk_fma_f32 v[164:165], v[126:127], s[6:7], v[78:79] op_sel:[0,0,1] op_sel_hi:[1,0,0] neg_lo:[0,0,1] neg_hi:[0,0,1]
	v_pk_fma_f32 v[166:167], v[126:127], s[6:7], v[78:79] op_sel:[0,0,1] op_sel_hi:[1,0,0]
	v_mov_b32_e32 v78, v164
	v_mov_b32_e32 v79, v167
	v_pk_add_f32 v[60:61], v[78:79], v[60:61]
	v_pk_mul_f32 v[78:79], v[124:125], s[36:37] op_sel_hi:[1,0]
	s_mov_b32 s56, 0x3f7ee86f
	v_pk_fma_f32 v[168:169], v[118:119], s[30:31], v[78:79] op_sel:[0,0,1] op_sel_hi:[1,0,0] neg_lo:[0,0,1] neg_hi:[0,0,1]
	v_pk_fma_f32 v[170:171], v[118:119], s[30:31], v[78:79] op_sel:[0,0,1] op_sel_hi:[1,0,0]
	v_mov_b32_e32 v78, v168
	;; [unrolled: 7-line block ×4, first 2 shown]
	v_mov_b32_e32 v79, v179
	v_pk_add_f32 v[60:61], v[78:79], v[60:61]
	v_pk_mul_f32 v[78:79], v[104:105], s[44:45] op_sel_hi:[1,0]
	v_pk_mul_f32 v[184:185], v[80:81], s[42:43]
	v_pk_fma_f32 v[180:181], v[102:103], s[22:23], v[78:79] op_sel:[0,0,1] op_sel_hi:[1,0,0] neg_lo:[0,0,1] neg_hi:[0,0,1]
	v_pk_fma_f32 v[182:183], v[102:103], s[22:23], v[78:79] op_sel:[0,0,1] op_sel_hi:[1,0,0]
	v_mov_b32_e32 v78, v180
	v_mov_b32_e32 v79, v183
	v_pk_add_f32 v[60:61], v[78:79], v[60:61]
	v_pk_mul_f32 v[78:79], v[100:101], s[42:43] op_sel_hi:[1,0]
	s_mov_b32 s18, s43
	v_pk_fma_f32 v[188:189], v[96:97], s[52:53], v[78:79] op_sel:[0,0,1] op_sel_hi:[1,0,0] neg_lo:[0,0,1] neg_hi:[0,0,1]
	v_pk_fma_f32 v[190:191], v[96:97], s[52:53], v[78:79] op_sel:[0,0,1] op_sel_hi:[1,0,0]
	v_mov_b32_e32 v78, v188
	v_mov_b32_e32 v79, v191
	s_mov_b32 s19, s42
	s_mov_b32 s48, s39
	;; [unrolled: 1-line block ×3, first 2 shown]
	v_pk_add_f32 v[60:61], v[78:79], v[60:61]
	v_pk_fma_f32 v[186:187], v[220:221], s[18:19], v[184:185]
	v_pk_fma_f32 v[78:79], v[220:221], s[18:19], v[184:185] neg_lo:[0,0,1] neg_hi:[0,0,1]
	v_pk_mul_f32 v[192:193], v[136:137], s[48:49]
	s_mov_b32 s38, s24
	v_mov_b32_e32 v79, v187
	v_pk_fma_f32 v[194:195], v[92:93], s[38:39], v[192:193]
	v_pk_fma_f32 v[88:89], v[92:93], s[38:39], v[192:193] neg_lo:[0,0,1] neg_hi:[0,0,1]
	v_pk_add_f32 v[78:79], v[56:57], v[78:79]
	v_mov_b32_e32 v89, v195
	v_pk_add_f32 v[78:79], v[88:89], v[78:79]
	v_pk_mul_f32 v[88:89], v[128:129], s[44:45] op_sel_hi:[1,0]
	s_mov_b32 s50, 0xbf2c7751
	v_pk_fma_f32 v[196:197], v[126:127], s[22:23], v[88:89] op_sel:[0,0,1] op_sel_hi:[1,0,0]
	v_pk_fma_f32 v[198:199], v[126:127], s[22:23], v[88:89] op_sel:[0,0,1] op_sel_hi:[1,0,0] neg_lo:[0,0,1] neg_hi:[0,0,1]
	v_mov_b32_e32 v89, v197
	v_mov_b32_e32 v88, v198
	v_pk_add_f32 v[78:79], v[88:89], v[78:79]
	v_pk_mul_f32 v[88:89], v[124:125], s[28:29] op_sel_hi:[1,0]
	s_mov_b32 s48, 0x3f65296c
	v_pk_fma_f32 v[200:201], v[118:119], s[26:27], v[88:89] op_sel:[0,0,1] op_sel_hi:[1,0,0]
	v_pk_fma_f32 v[202:203], v[118:119], s[26:27], v[88:89] op_sel:[0,0,1] op_sel_hi:[1,0,0] neg_lo:[0,0,1] neg_hi:[0,0,1]
	v_mov_b32_e32 v89, v201
	;; [unrolled: 7-line block ×3, first 2 shown]
	v_mov_b32_e32 v88, v206
	v_pk_add_f32 v[78:79], v[88:89], v[78:79]
	v_pk_mul_f32 v[88:89], v[112:113], s[50:51] op_sel_hi:[1,0]
	v_pk_mul_f32 v[244:245], v[112:113], s[60:61] op_sel_hi:[1,0]
	v_pk_fma_f32 v[208:209], v[106:107], s[6:7], v[88:89] op_sel:[0,0,1] op_sel_hi:[1,0,0]
	v_pk_fma_f32 v[210:211], v[106:107], s[6:7], v[88:89] op_sel:[0,0,1] op_sel_hi:[1,0,0] neg_lo:[0,0,1] neg_hi:[0,0,1]
	v_mov_b32_e32 v89, v209
	v_mov_b32_e32 v88, v210
	v_pk_add_f32 v[78:79], v[88:89], v[78:79]
	v_pk_mul_f32 v[88:89], v[104:105], s[60:61] op_sel_hi:[1,0]
	v_pk_mul_f32 v[130:131], v[80:81], s[28:29]
	v_pk_fma_f32 v[212:213], v[102:103], s[20:21], v[88:89] op_sel:[0,0,1] op_sel_hi:[1,0,0]
	v_pk_fma_f32 v[214:215], v[102:103], s[20:21], v[88:89] op_sel:[0,0,1] op_sel_hi:[1,0,0] neg_lo:[0,0,1] neg_hi:[0,0,1]
	v_mov_b32_e32 v89, v213
	v_mov_b32_e32 v88, v214
	v_pk_add_f32 v[78:79], v[88:89], v[78:79]
	v_pk_mul_f32 v[88:89], v[100:101], s[48:49] op_sel_hi:[1,0]
	s_mov_b32 s60, s26
	v_pk_fma_f32 v[216:217], v[96:97], s[30:31], v[88:89] op_sel:[0,0,1] op_sel_hi:[1,0,0]
	v_pk_fma_f32 v[218:219], v[96:97], s[30:31], v[88:89] op_sel:[0,0,1] op_sel_hi:[1,0,0] neg_lo:[0,0,1] neg_hi:[0,0,1]
	v_mov_b32_e32 v89, v217
	v_mov_b32_e32 v88, v218
	s_mov_b32 s61, s28
	v_pk_add_f32 v[78:79], v[88:89], v[78:79]
	v_pk_mul_f32 v[88:89], v[82:83], s[48:49] op_sel:[1,0] op_sel_hi:[0,0]
	v_pk_fma_f32 v[236:237], v[220:221], s[60:61], v[130:131]
	v_pk_fma_f32 v[140:141], v[220:221], s[60:61], v[130:131] neg_lo:[1,0,0] neg_hi:[1,0,0]
	v_pk_fma_f32 v[130:131], v[220:221], s[60:61], v[130:131] neg_lo:[0,0,1] neg_hi:[0,0,1]
	v_pk_fma_f32 v[90:91], v[76:77], s[30:31], v[88:89] op_sel_hi:[1,0,1]
	v_pk_fma_f32 v[76:77], v[76:77], s[30:31], v[88:89] op_sel_hi:[1,0,1] neg_lo:[0,0,1] neg_hi:[0,0,1]
	v_pk_mul_f32 v[222:223], v[128:129], s[16:17] op_sel_hi:[1,0]
	v_mov_b32_e32 v131, v237
	v_mov_b32_e32 v89, v77
	v_pk_fma_f32 v[224:225], v[126:127], s[54:55], v[222:223] op_sel:[0,0,1] op_sel_hi:[1,0,0]
	v_pk_fma_f32 v[222:223], v[126:127], s[54:55], v[222:223] op_sel:[0,0,1] op_sel_hi:[1,0,0] neg_lo:[0,0,1] neg_hi:[0,0,1]
	v_pk_mul_f32 v[228:229], v[124:125], s[58:59] op_sel_hi:[1,0]
	v_pk_add_f32 v[130:131], v[56:57], v[130:131]
	v_mov_b32_e32 v237, v141
	v_mov_b32_e32 v77, v91
	;; [unrolled: 1-line block ×4, first 2 shown]
	v_pk_fma_f32 v[230:231], v[118:119], s[52:53], v[228:229] op_sel:[0,0,1] op_sel_hi:[1,0,0]
	v_pk_fma_f32 v[228:229], v[118:119], s[52:53], v[228:229] op_sel:[0,0,1] op_sel_hi:[1,0,0] neg_lo:[0,0,1] neg_hi:[0,0,1]
	v_pk_mul_f32 v[238:239], v[116:117], s[44:45] op_sel_hi:[1,0]
	v_pk_add_f32 v[140:141], v[56:57], v[236:237]
	v_pk_add_f32 v[76:77], v[76:77], v[130:131]
	v_mov_b32_e32 v223, v225
	v_mov_b32_e32 v226, v224
	;; [unrolled: 1-line block ×3, first 2 shown]
	v_pk_fma_f32 v[240:241], v[114:115], s[22:23], v[238:239] op_sel:[0,0,1] op_sel_hi:[1,0,0]
	v_pk_fma_f32 v[238:239], v[114:115], s[22:23], v[238:239] op_sel:[0,0,1] op_sel_hi:[1,0,0] neg_lo:[0,0,1] neg_hi:[0,0,1]
	v_pk_add_f32 v[88:89], v[88:89], v[140:141]
	v_pk_add_f32 v[76:77], v[222:223], v[76:77]
	v_mov_b32_e32 v229, v231
	v_mov_b32_e32 v232, v230
	;; [unrolled: 1-line block ×3, first 2 shown]
	v_pk_fma_f32 v[246:247], v[106:107], s[20:21], v[244:245] op_sel:[0,0,1] op_sel_hi:[1,0,0]
	v_pk_fma_f32 v[244:245], v[106:107], s[20:21], v[244:245] op_sel:[0,0,1] op_sel_hi:[1,0,0] neg_lo:[0,0,1] neg_hi:[0,0,1]
	v_pk_mul_f32 v[250:251], v[104:105], s[40:41] op_sel_hi:[1,0]
	s_mov_b32 s58, s25
	v_pk_add_f32 v[88:89], v[226:227], v[88:89]
	v_pk_add_f32 v[76:77], v[228:229], v[76:77]
	v_mov_b32_e32 v239, v241
	v_mov_b32_e32 v242, v240
	;; [unrolled: 1-line block ×3, first 2 shown]
	v_pk_fma_f32 v[252:253], v[102:103], s[6:7], v[250:251] op_sel:[0,0,1] op_sel_hi:[1,0,0]
	v_pk_fma_f32 v[250:251], v[102:103], s[6:7], v[250:251] op_sel:[0,0,1] op_sel_hi:[1,0,0] neg_lo:[0,0,1] neg_hi:[0,0,1]
	v_pk_mul_f32 v[86:87], v[100:101], s[58:59] op_sel_hi:[1,0]
	v_pk_add_f32 v[88:89], v[232:233], v[88:89]
	v_pk_add_f32 v[76:77], v[238:239], v[76:77]
	v_mov_b32_e32 v245, v247
	v_mov_b32_e32 v248, v246
	;; [unrolled: 1-line block ×3, first 2 shown]
	v_pk_fma_f32 v[120:121], v[96:97], s[24:25], v[86:87] op_sel:[0,0,1] op_sel_hi:[1,0,0]
	v_pk_fma_f32 v[86:87], v[96:97], s[24:25], v[86:87] op_sel:[0,0,1] op_sel_hi:[1,0,0] neg_lo:[0,0,1] neg_hi:[0,0,1]
	v_pk_add_f32 v[88:89], v[242:243], v[88:89]
	v_pk_add_f32 v[76:77], v[244:245], v[76:77]
	v_mov_b32_e32 v251, v253
	v_mov_b32_e32 v254, v252
	;; [unrolled: 1-line block ×3, first 2 shown]
	v_pk_add_f32 v[88:89], v[248:249], v[88:89]
	v_pk_add_f32 v[76:77], v[250:251], v[76:77]
	v_mov_b32_e32 v87, v121
	v_mov_b32_e32 v234, v120
	v_pk_add_f32 v[88:89], v[254:255], v[88:89]
	v_pk_add_f32 v[76:77], v[86:87], v[76:77]
	v_pk_mul_f32 v[86:87], v[220:221], s[20:21]
	s_mov_b32 s23, s34
	v_pk_add_f32 v[90:91], v[234:235], v[88:89]
	v_pk_fma_f32 v[88:89], v[80:81], s[46:47], v[86:87] neg_lo:[1,0,0] neg_hi:[1,0,0]
	v_pk_fma_f32 v[120:121], v[80:81], s[46:47], v[86:87]
	s_mov_b32 s35, s22
	v_pk_mul_f32 v[130:131], v[92:93], s[22:23]
	v_mov_b32_e32 v89, v121
	v_pk_fma_f32 v[82:83], v[82:83], s[34:35], v[130:131] op_sel:[1,0,0] neg_lo:[1,0,0] neg_hi:[1,0,0]
	v_pk_fma_f32 v[140:141], v[136:137], s[34:35], v[130:131]
	v_pk_add_f32 v[88:89], v[56:57], v[88:89]
	v_mov_b32_e32 v83, v141
	v_pk_add_f32 v[82:83], v[82:83], v[88:89]
	v_pk_mul_f32 v[88:89], v[128:129], s[28:29] op_sel_hi:[1,0]
	v_pk_fma_f32 v[80:81], v[80:81], s[46:47], v[86:87] neg_lo:[0,0,1] neg_hi:[0,0,1]
	v_pk_fma_f32 v[222:223], v[126:127], s[26:27], v[88:89] op_sel:[0,0,1] op_sel_hi:[1,0,0] neg_lo:[0,0,1] neg_hi:[0,0,1]
	v_pk_fma_f32 v[88:89], v[126:127], s[26:27], v[88:89] op_sel:[0,0,1] op_sel_hi:[1,0,0]
	v_mov_b32_e32 v224, v222
	v_mov_b32_e32 v225, v89
	v_pk_add_f32 v[82:83], v[224:225], v[82:83]
	v_pk_mul_f32 v[224:225], v[124:125], s[40:41] op_sel_hi:[1,0]
	v_mov_b32_e32 v121, v81
	v_pk_fma_f32 v[226:227], v[118:119], s[6:7], v[224:225] op_sel:[0,0,1] op_sel_hi:[1,0,0] neg_lo:[0,0,1] neg_hi:[0,0,1]
	v_pk_fma_f32 v[224:225], v[118:119], s[6:7], v[224:225] op_sel:[0,0,1] op_sel_hi:[1,0,0]
	v_mov_b32_e32 v228, v226
	v_mov_b32_e32 v229, v225
	v_pk_add_f32 v[82:83], v[228:229], v[82:83]
	v_pk_mul_f32 v[228:229], v[116:117], s[42:43] op_sel_hi:[1,0]
	v_pk_fma_f32 v[86:87], v[136:137], s[34:35], v[130:131] neg_lo:[0,0,1] neg_hi:[0,0,1]
	v_pk_fma_f32 v[230:231], v[114:115], s[52:53], v[228:229] op_sel:[0,0,1] op_sel_hi:[1,0,0] neg_lo:[0,0,1] neg_hi:[0,0,1]
	v_pk_fma_f32 v[228:229], v[114:115], s[52:53], v[228:229] op_sel:[0,0,1] op_sel_hi:[1,0,0]
	v_mov_b32_e32 v232, v230
	v_mov_b32_e32 v233, v229
	v_pk_add_f32 v[82:83], v[232:233], v[82:83]
	v_pk_mul_f32 v[232:233], v[112:113], s[48:49] op_sel_hi:[1,0]
	v_pk_add_f32 v[80:81], v[56:57], v[120:121]
	v_pk_fma_f32 v[234:235], v[106:107], s[30:31], v[232:233] op_sel:[0,0,1] op_sel_hi:[1,0,0] neg_lo:[0,0,1] neg_hi:[0,0,1]
	v_pk_fma_f32 v[232:233], v[106:107], s[30:31], v[232:233] op_sel:[0,0,1] op_sel_hi:[1,0,0]
	v_mov_b32_e32 v236, v234
	v_mov_b32_e32 v237, v233
	;; [unrolled: 1-line block ×3, first 2 shown]
	v_pk_add_f32 v[82:83], v[236:237], v[82:83]
	v_pk_mul_f32 v[236:237], v[104:105], s[58:59] op_sel_hi:[1,0]
	v_pk_add_f32 v[80:81], v[140:141], v[80:81]
	v_mov_b32_e32 v89, v223
	v_pk_fma_f32 v[238:239], v[102:103], s[24:25], v[236:237] op_sel:[0,0,1] op_sel_hi:[1,0,0] neg_lo:[0,0,1] neg_hi:[0,0,1]
	v_pk_fma_f32 v[236:237], v[102:103], s[24:25], v[236:237] op_sel:[0,0,1] op_sel_hi:[1,0,0]
	v_pk_add_f32 v[80:81], v[88:89], v[80:81]
	v_mov_b32_e32 v225, v227
	v_mov_b32_e32 v240, v238
	;; [unrolled: 1-line block ×3, first 2 shown]
	v_pk_add_f32 v[80:81], v[224:225], v[80:81]
	v_mov_b32_e32 v229, v231
	v_pk_add_f32 v[82:83], v[240:241], v[82:83]
	v_pk_mul_f32 v[240:241], v[100:101], s[56:57] op_sel_hi:[1,0]
	v_pk_add_f32 v[80:81], v[228:229], v[80:81]
	v_mov_b32_e32 v233, v235
	v_pk_add_f32 v[80:81], v[232:233], v[80:81]
	v_mov_b32_e32 v237, v239
	v_pk_fma_f32 v[86:87], v[96:97], s[54:55], v[240:241] op_sel:[0,0,1] op_sel_hi:[1,0,0]
	v_pk_fma_f32 v[88:89], v[96:97], s[54:55], v[240:241] op_sel:[0,0,1] op_sel_hi:[1,0,0] neg_lo:[0,0,1] neg_hi:[0,0,1]
	v_pk_add_f32 v[80:81], v[236:237], v[80:81]
	v_mov_b32_e32 v120, v86
	v_mov_b32_e32 v121, v89
	;; [unrolled: 1-line block ×3, first 2 shown]
	v_pk_add_f32 v[80:81], v[120:121], v[80:81]
	v_pk_add_f32 v[82:83], v[88:89], v[82:83]
	s_barrier
	s_and_saveexec_b64 s[46:47], s[4:5]
	s_cbranch_execz .LBB0_17
; %bb.16:
	v_pk_add_f32 v[58:59], v[58:59], v[56:57]
	v_pk_mul_f32 v[86:87], v[220:221], s[18:19]
	v_pk_add_f32 v[58:59], v[64:65], v[58:59]
	v_accvgpr_write_b32 a16, v86
	v_pk_add_f32 v[58:59], v[66:67], v[58:59]
	v_accvgpr_write_b32 a17, v87
	v_pk_add_f32 v[58:59], v[72:73], v[58:59]
	v_pk_mul_f32 v[86:87], v[92:93], s[38:39]
	v_pk_add_f32 v[58:59], v[74:75], v[58:59]
	v_accvgpr_write_b32 a14, v86
	v_pk_add_f32 v[58:59], v[68:69], v[58:59]
	v_accvgpr_write_b32 a15, v87
	v_pk_add_f32 v[58:59], v[70:71], v[58:59]
	v_pk_mul_f32 v[86:87], v[138:139], s[44:45] op_sel_hi:[1,0]
	v_pk_add_f32 v[44:45], v[44:45], v[58:59]
	s_mov_b32 s51, s6
	v_pk_add_f32 v[44:45], v[46:47], v[44:45]
	v_pk_mul_f32 v[120:121], v[220:221], s[0:1]
	v_pk_add_f32 v[44:45], v[52:53], v[44:45]
	v_pk_mul_f32 v[222:223], v[220:221], s[24:25]
	v_pk_add_f32 v[44:45], v[54:55], v[44:45]
	v_pk_fma_f32 v[220:221], v[134:135], s[22:23], v[86:87] op_sel:[0,0,1] op_sel_hi:[1,0,0]
	v_pk_add_f32 v[44:45], v[48:49], v[44:45]
	s_mov_b32 s7, s50
	v_pk_add_f32 v[44:45], v[50:51], v[44:45]
	v_pk_mul_f32 v[46:47], v[136:137], s[50:51]
	v_pk_add_f32 v[0:1], v[0:1], v[44:45]
	v_mov_b32_e32 v44, v220
	v_pk_add_f32 v[0:1], v[2:3], v[0:1]
	v_pk_fma_f32 v[2:3], v[134:135], s[22:23], v[86:87] op_sel:[0,0,1] op_sel_hi:[1,0,0] neg_lo:[0,0,1] neg_hi:[0,0,1]
	v_pk_fma_f32 v[140:141], v[92:93], s[6:7], v[46:47]
	v_mov_b32_e32 v45, v3
	v_pk_fma_f32 v[50:51], v[92:93], s[6:7], v[46:47] neg_lo:[1,0,0] neg_hi:[1,0,0]
	v_pk_add_f32 v[48:49], v[56:57], v[44:45]
	v_mov_b32_e32 v50, v140
	v_pk_add_f32 v[52:53], v[50:51], v[48:49]
	v_pk_mul_f32 v[50:51], v[128:129], s[36:37] op_sel_hi:[1,0]
	s_mov_b32 s38, s17
	v_pk_fma_f32 v[48:49], v[126:127], s[30:31], v[50:51] op_sel:[0,0,1] op_sel_hi:[1,0,0]
	v_pk_fma_f32 v[50:51], v[126:127], s[30:31], v[50:51] op_sel:[0,0,1] op_sel_hi:[1,0,0] neg_lo:[0,0,1] neg_hi:[0,0,1]
	v_mov_b32_e32 v54, v48
	v_mov_b32_e32 v55, v51
	v_pk_add_f32 v[58:59], v[54:55], v[52:53]
	v_pk_mul_f32 v[54:55], v[124:125], s[16:17] op_sel_hi:[1,0]
	v_accvgpr_read_b32 v64, a4
	v_pk_fma_f32 v[52:53], v[118:119], s[38:39], v[54:55] op_sel:[0,0,1] op_sel_hi:[1,0,0]
	v_pk_fma_f32 v[54:55], v[118:119], s[38:39], v[54:55] op_sel:[0,0,1] op_sel_hi:[1,0,0] neg_lo:[0,0,1] neg_hi:[0,0,1]
	v_lshlrev_b32_e32 v85, 3, v64
	v_mov_b32_e32 v64, v52
	v_mov_b32_e32 v65, v55
	s_mov_b32 s52, s25
	v_pk_add_f32 v[66:67], v[64:65], v[58:59]
	v_pk_mul_f32 v[64:65], v[116:117], s[52:53] op_sel_hi:[1,0]
	s_mov_b32 s52, s43
	v_pk_fma_f32 v[58:59], v[114:115], s[24:25], v[64:65] op_sel:[0,0,1] op_sel_hi:[1,0,0]
	v_pk_fma_f32 v[64:65], v[114:115], s[24:25], v[64:65] op_sel:[0,0,1] op_sel_hi:[1,0,0] neg_lo:[0,0,1] neg_hi:[0,0,1]
	v_mov_b32_e32 v68, v58
	v_mov_b32_e32 v69, v65
	v_pk_add_f32 v[70:71], v[68:69], v[66:67]
	v_pk_mul_f32 v[68:69], v[112:113], s[42:43] op_sel_hi:[1,0]
	s_mov_b32 s54, s21
	v_pk_fma_f32 v[66:67], v[106:107], s[52:53], v[68:69] op_sel:[0,0,1] op_sel_hi:[1,0,0]
	v_pk_fma_f32 v[68:69], v[106:107], s[52:53], v[68:69] op_sel:[0,0,1] op_sel_hi:[1,0,0] neg_lo:[0,0,1] neg_hi:[0,0,1]
	v_mov_b32_e32 v72, v66
	v_mov_b32_e32 v73, v69
	v_pk_add_f32 v[74:75], v[72:73], v[70:71]
	v_pk_mul_f32 v[72:73], v[104:105], s[28:29] op_sel_hi:[1,0]
	v_pk_add_f32 v[88:89], v[148:149], v[0:1]
	v_pk_fma_f32 v[70:71], v[102:103], s[26:27], v[72:73] op_sel:[0,0,1] op_sel_hi:[1,0,0]
	v_pk_fma_f32 v[72:73], v[102:103], s[26:27], v[72:73] op_sel:[0,0,1] op_sel_hi:[1,0,0] neg_lo:[0,0,1] neg_hi:[0,0,1]
	v_mov_b32_e32 v86, v70
	v_mov_b32_e32 v87, v73
	v_pk_add_f32 v[224:225], v[86:87], v[74:75]
	v_pk_mul_f32 v[86:87], v[100:101], s[54:55] op_sel_hi:[1,0]
	v_pk_mul_f32 v[228:229], v[136:137], s[16:17]
	v_pk_fma_f32 v[74:75], v[96:97], s[20:21], v[86:87] op_sel:[0,0,1] op_sel_hi:[1,0,0]
	v_pk_fma_f32 v[86:87], v[96:97], s[20:21], v[86:87] op_sel:[0,0,1] op_sel_hi:[1,0,0] neg_lo:[0,0,1] neg_hi:[0,0,1]
	v_mov_b32_e32 v226, v74
	v_mov_b32_e32 v227, v87
	v_pk_add_f32 v[224:225], v[226:227], v[224:225]
	ds_write2_b64 v85, v[88:89], v[224:225] offset1:1
	v_pk_mul_f32 v[224:225], v[138:139], s[50:51] op_sel_hi:[1,0]
	v_pk_fma_f32 v[232:233], v[92:93], s[0:1], v[228:229] neg_lo:[1,0,0] neg_hi:[1,0,0]
	v_pk_fma_f32 v[88:89], v[134:135], s[6:7], v[224:225] op_sel:[0,0,1] op_sel_hi:[1,0,0]
	v_pk_fma_f32 v[224:225], v[134:135], s[6:7], v[224:225] op_sel:[0,0,1] op_sel_hi:[1,0,0] neg_lo:[0,0,1] neg_hi:[0,0,1]
	v_mov_b32_e32 v226, v88
	v_mov_b32_e32 v227, v225
	v_pk_add_f32 v[230:231], v[56:57], v[226:227]
	v_pk_fma_f32 v[226:227], v[92:93], s[0:1], v[228:229]
	s_mov_b32 s50, s27
	v_mov_b32_e32 v232, v226
	v_pk_add_f32 v[236:237], v[232:233], v[230:231]
	v_pk_mul_f32 v[232:233], v[128:129], s[42:43] op_sel_hi:[1,0]
	v_pk_mul_f32 v[138:139], v[138:139], s[36:37] op_sel_hi:[1,0]
	v_pk_fma_f32 v[230:231], v[126:127], s[52:53], v[232:233] op_sel:[0,0,1] op_sel_hi:[1,0,0]
	v_pk_fma_f32 v[232:233], v[126:127], s[52:53], v[232:233] op_sel:[0,0,1] op_sel_hi:[1,0,0] neg_lo:[0,0,1] neg_hi:[0,0,1]
	v_mov_b32_e32 v238, v230
	v_mov_b32_e32 v239, v233
	v_pk_add_f32 v[236:237], v[238:239], v[236:237]
	v_pk_mul_f32 v[238:239], v[124:125], s[54:55] op_sel_hi:[1,0]
	v_pk_mul_f32 v[136:137], v[136:137], s[42:43]
	v_pk_fma_f32 v[240:241], v[118:119], s[20:21], v[238:239] op_sel:[0,0,1] op_sel_hi:[1,0,0]
	v_pk_fma_f32 v[238:239], v[118:119], s[20:21], v[238:239] op_sel:[0,0,1] op_sel_hi:[1,0,0] neg_lo:[0,0,1] neg_hi:[0,0,1]
	v_mov_b32_e32 v242, v240
	v_mov_b32_e32 v243, v239
	v_pk_add_f32 v[236:237], v[242:243], v[236:237]
	v_pk_mul_f32 v[242:243], v[116:117], s[50:51] op_sel_hi:[1,0]
	s_mov_b32 s50, s39
	v_pk_fma_f32 v[244:245], v[114:115], s[26:27], v[242:243] op_sel:[0,0,1] op_sel_hi:[1,0,0]
	v_pk_fma_f32 v[242:243], v[114:115], s[26:27], v[242:243] op_sel:[0,0,1] op_sel_hi:[1,0,0] neg_lo:[0,0,1] neg_hi:[0,0,1]
	v_mov_b32_e32 v246, v244
	v_mov_b32_e32 v247, v243
	v_pk_add_f32 v[236:237], v[246:247], v[236:237]
	v_pk_mul_f32 v[246:247], v[112:113], s[50:51] op_sel_hi:[1,0]
	v_pk_fma_f32 v[148:149], v[92:93], s[18:19], v[136:137]
	v_pk_fma_f32 v[248:249], v[106:107], s[24:25], v[246:247] op_sel:[0,0,1] op_sel_hi:[1,0,0]
	v_pk_fma_f32 v[246:247], v[106:107], s[24:25], v[246:247] op_sel:[0,0,1] op_sel_hi:[1,0,0] neg_lo:[0,0,1] neg_hi:[0,0,1]
	v_mov_b32_e32 v250, v248
	v_mov_b32_e32 v251, v247
	v_pk_add_f32 v[236:237], v[250:251], v[236:237]
	v_pk_mul_f32 v[250:251], v[104:105], s[48:49] op_sel_hi:[1,0]
	v_mov_b32_e32 v3, v145
	v_pk_fma_f32 v[252:253], v[102:103], s[30:31], v[250:251] op_sel:[0,0,1] op_sel_hi:[1,0,0]
	v_pk_fma_f32 v[250:251], v[102:103], s[30:31], v[250:251] op_sel:[0,0,1] op_sel_hi:[1,0,0] neg_lo:[0,0,1] neg_hi:[0,0,1]
	v_mov_b32_e32 v254, v252
	v_mov_b32_e32 v255, v251
	v_pk_add_f32 v[236:237], v[254:255], v[236:237]
	v_pk_mul_f32 v[254:255], v[100:101], s[34:35] op_sel_hi:[1,0]
	v_pk_fma_f32 v[144:145], v[92:93], s[18:19], v[136:137] neg_lo:[1,0,0] neg_hi:[1,0,0]
	v_pk_fma_f32 v[44:45], v[96:97], s[22:23], v[254:255] op_sel:[0,0,1] op_sel_hi:[1,0,0]
	v_pk_fma_f32 v[254:255], v[96:97], s[22:23], v[254:255] op_sel:[0,0,1] op_sel_hi:[1,0,0] neg_lo:[0,0,1] neg_hi:[0,0,1]
	v_mov_b32_e32 v0, v44
	v_mov_b32_e32 v1, v255
	v_pk_add_f32 v[0:1], v[0:1], v[236:237]
	v_pk_fma_f32 v[236:237], v[134:135], s[30:31], v[138:139] op_sel:[0,0,1] op_sel_hi:[1,0,0]
	v_pk_fma_f32 v[134:135], v[134:135], s[30:31], v[138:139] op_sel:[0,0,1] op_sel_hi:[1,0,0] neg_lo:[0,0,1] neg_hi:[0,0,1]
	v_mov_b32_e32 v138, v236
	v_mov_b32_e32 v139, v135
	s_mov_b32 s30, 0x3e3c28d5
	v_pk_add_f32 v[138:139], v[56:57], v[138:139]
	v_mov_b32_e32 v144, v148
	v_pk_mul_f32 v[128:129], v[128:129], s[30:31] op_sel_hi:[1,0]
	v_pk_add_f32 v[138:139], v[144:145], v[138:139]
	v_pk_fma_f32 v[144:145], v[126:127], s[20:21], v[128:129] op_sel:[0,0,1] op_sel_hi:[1,0,0]
	v_pk_fma_f32 v[126:127], v[126:127], s[20:21], v[128:129] op_sel:[0,0,1] op_sel_hi:[1,0,0] neg_lo:[0,0,1] neg_hi:[0,0,1]
	v_mov_b32_e32 v128, v144
	v_mov_b32_e32 v129, v127
	v_pk_mul_f32 v[124:125], v[124:125], s[50:51] op_sel_hi:[1,0]
	v_pk_add_f32 v[128:129], v[128:129], v[138:139]
	v_pk_fma_f32 v[138:139], v[118:119], s[24:25], v[124:125] op_sel:[0,0,1] op_sel_hi:[1,0,0]
	v_pk_fma_f32 v[118:119], v[118:119], s[24:25], v[124:125] op_sel:[0,0,1] op_sel_hi:[1,0,0] neg_lo:[0,0,1] neg_hi:[0,0,1]
	v_mov_b32_e32 v124, v138
	;; [unrolled: 6-line block ×6, first 2 shown]
	v_mov_b32_e32 v101, v97
	v_pk_mul_f32 v[130:131], v[92:93], s[20:21]
	v_pk_add_f32 v[100:101], v[100:101], v[104:105]
	ds_write2_b64 v85, v[0:1], v[100:101] offset0:2 offset1:3
	v_pk_add_f32 v[0:1], v[94:95], v[120:121] neg_lo:[0,1] neg_hi:[0,1]
	v_pk_add_f32 v[94:95], v[108:109], v[130:131] neg_lo:[0,1] neg_hi:[0,1]
	v_pk_mul_f32 v[234:235], v[92:93], s[26:27]
	v_mov_b32_e32 v99, v1
	v_mov_b32_e32 v111, v95
	v_pk_add_f32 v[94:95], v[156:157], v[222:223] neg_lo:[0,1] neg_hi:[0,1]
	v_pk_add_f32 v[0:1], v[56:57], v[98:99]
	v_mov_b32_e32 v159, v95
	v_pk_add_f32 v[98:99], v[160:161], v[234:235] neg_lo:[0,1] neg_hi:[0,1]
	v_pk_add_f32 v[94:95], v[56:57], v[158:159]
	v_mov_b32_e32 v163, v99
	v_pk_add_f32 v[0:1], v[110:111], v[0:1]
	v_accvgpr_read_b32 v123, a5
	v_pk_add_f32 v[94:95], v[162:163], v[94:95]
	v_mov_b32_e32 v167, v165
	v_pk_add_f32 v[0:1], v[122:123], v[0:1]
	v_accvgpr_read_b32 v133, a7
	;; [unrolled: 4-line block ×5, first 2 shown]
	v_pk_add_f32 v[94:95], v[178:179], v[94:95]
	v_mov_b32_e32 v183, v181
	v_pk_add_f32 v[0:1], v[150:151], v[0:1]
	v_mov_b32_e32 v155, v153
	;; [unrolled: 2-line block ×3, first 2 shown]
	v_pk_add_f32 v[0:1], v[154:155], v[0:1]
	v_pk_add_f32 v[94:95], v[190:191], v[94:95]
	ds_write2_b64 v85, v[0:1], v[94:95] offset0:4 offset1:5
	v_accvgpr_read_b32 v0, a16
	v_accvgpr_read_b32 v1, a17
	;; [unrolled: 1-line block ×3, first 2 shown]
	v_pk_add_f32 v[0:1], v[184:185], v[0:1] neg_lo:[0,1] neg_hi:[0,1]
	v_accvgpr_read_b32 v94, a14
	v_mov_b32_e32 v187, v1
	v_pk_add_f32 v[94:95], v[192:193], v[94:95] neg_lo:[0,1] neg_hi:[0,1]
	v_pk_add_f32 v[0:1], v[56:57], v[186:187]
	v_mov_b32_e32 v195, v95
	v_pk_add_f32 v[0:1], v[194:195], v[0:1]
	v_mov_b32_e32 v197, v199
	;; [unrolled: 2-line block ×8, first 2 shown]
	v_pk_fma_f32 v[94:95], v[92:93], s[18:19], v[136:137] neg_lo:[0,0,1] neg_hi:[0,0,1]
	ds_write2_b64 v85, v[0:1], v[90:91] offset0:6 offset1:7
	ds_write2_b64 v85, v[80:81], v[82:83] offset0:8 offset1:9
	;; [unrolled: 1-line block ×4, first 2 shown]
	v_pk_add_f32 v[0:1], v[56:57], v[134:135]
	v_mov_b32_e32 v95, v149
	v_pk_add_f32 v[0:1], v[94:95], v[0:1]
	v_mov_b32_e32 v225, v89
	v_pk_fma_f32 v[94:95], v[92:93], s[0:1], v[228:229] neg_lo:[0,0,1] neg_hi:[0,0,1]
	v_pk_add_f32 v[88:89], v[56:57], v[224:225]
	v_mov_b32_e32 v95, v227
	v_mov_b32_e32 v127, v145
	v_pk_add_f32 v[88:89], v[94:95], v[88:89]
	v_mov_b32_e32 v233, v231
	v_pk_add_f32 v[0:1], v[126:127], v[0:1]
	;; [unrolled: 2-line block ×11, first 2 shown]
	v_mov_b32_e32 v255, v45
	v_mov_b32_e32 v145, v3
	v_pk_add_f32 v[0:1], v[96:97], v[0:1]
	v_pk_add_f32 v[44:45], v[254:255], v[88:89]
	v_mov_b32_e32 v3, v221
	ds_write2_b64 v85, v[0:1], v[44:45] offset0:14 offset1:15
	v_pk_add_f32 v[0:1], v[56:57], v[2:3]
	v_pk_fma_f32 v[2:3], v[92:93], s[6:7], v[46:47] neg_lo:[0,0,1] neg_hi:[0,0,1]
	v_mov_b32_e32 v51, v49
	v_mov_b32_e32 v3, v141
	v_pk_add_f32 v[0:1], v[2:3], v[0:1]
	v_mov_b32_e32 v55, v53
	v_pk_add_f32 v[0:1], v[50:51], v[0:1]
	;; [unrolled: 2-line block ×6, first 2 shown]
	v_accvgpr_read_b32 v144, a1
	v_pk_add_f32 v[0:1], v[86:87], v[0:1]
	ds_write_b64 v85, v[0:1] offset:128
.LBB0_17:
	s_or_b64 exec, exec, s[46:47]
	v_add_u32_e32 v52, 0x800, v84
	v_add_u32_e32 v53, 0x1000, v84
	s_waitcnt lgkmcnt(0)
	s_barrier
	ds_read2_b64 v[0:3], v84 offset1:153
	ds_read2_b64 v[48:51], v52 offset0:50 offset1:203
	ds_read2_b64 v[44:47], v53 offset0:100 offset1:253
	ds_read_b64 v[68:69], v84 offset:7344
	s_and_saveexec_b64 s[0:1], s[2:3]
	s_cbranch_execz .LBB0_19
; %bb.18:
	ds_read_b64 v[90:91], v84 offset:952
	ds_read2_b64 v[80:83], v52 offset0:16 offset1:169
	ds_read2_b64 v[76:79], v53 offset0:66 offset1:219
	v_add_u32_e32 v52, 0x1a00, v84
	ds_read2_b64 v[60:63], v52 offset0:52 offset1:205
.LBB0_19:
	s_or_b64 exec, exec, s[0:1]
	s_waitcnt lgkmcnt(2)
	v_pk_mul_f32 v[94:95], v[20:21], v[50:51] op_sel:[0,1] op_sel_hi:[1,0]
	v_pk_mul_f32 v[70:71], v[16:17], v[2:3] op_sel_hi:[1,0]
	v_mov_b32_e32 v72, v3
	v_mov_b32_e32 v94, v95
	s_waitcnt lgkmcnt(1)
	v_pk_mul_f32 v[96:97], v[22:23], v[44:45] op_sel:[0,1] op_sel_hi:[1,0]
	v_pk_mul_f32 v[74:75], v[18:19], v[48:49] op_sel_hi:[1,0]
	v_mov_b32_e32 v86, v49
	v_pk_mul_f32 v[88:89], v[20:21], v[50:51]
	v_mov_b32_e32 v92, v21
	v_pk_fma_f32 v[20:21], v[20:21], v[50:51], v[94:95] op_sel:[0,1,0] op_sel_hi:[1,0,1] neg_lo:[0,0,1] neg_hi:[0,0,1]
	v_mov_b32_e32 v94, v23
	v_mov_b32_e32 v96, v97
	v_pk_fma_f32 v[72:73], v[16:17], v[72:73], v[70:71] op_sel:[0,0,1] op_sel_hi:[1,1,0] neg_lo:[0,0,1] neg_hi:[0,0,1]
	v_pk_fma_f32 v[2:3], v[16:17], v[2:3], v[70:71] op_sel:[0,1,1] op_sel_hi:[1,1,0]
	v_pk_mul_f32 v[92:93], v[92:93], v[50:51] op_sel:[0,1] op_sel_hi:[1,0]
	v_pk_mul_f32 v[50:51], v[22:23], v[44:45]
	v_pk_mul_f32 v[94:95], v[94:95], v[44:45] op_sel:[0,1] op_sel_hi:[1,0]
	v_pk_fma_f32 v[22:23], v[22:23], v[44:45], v[96:97] op_sel:[0,1,0] op_sel_hi:[1,0,1] neg_lo:[0,0,1] neg_hi:[0,0,1]
	v_pk_mul_f32 v[44:45], v[24:25], v[46:47] op_sel_hi:[1,0]
	v_mov_b32_e32 v96, v47
	v_mov_b32_e32 v73, v3
	v_pk_fma_f32 v[2:3], v[18:19], v[86:87], v[74:75] op_sel:[0,0,1] op_sel_hi:[1,1,0] neg_lo:[0,0,1] neg_hi:[0,0,1]
	v_pk_fma_f32 v[16:17], v[18:19], v[48:49], v[74:75] op_sel:[0,1,1] op_sel_hi:[1,1,0]
	s_waitcnt lgkmcnt(0)
	v_pk_mul_f32 v[98:99], v[26:27], v[68:69] op_sel_hi:[1,0]
	v_mov_b32_e32 v100, v69
	v_mov_b32_e32 v3, v17
	v_pk_fma_f32 v[16:17], v[24:25], v[96:97], v[44:45] op_sel:[0,0,1] op_sel_hi:[1,1,0] neg_lo:[0,0,1] neg_hi:[0,0,1]
	v_pk_fma_f32 v[18:19], v[24:25], v[46:47], v[44:45] op_sel:[0,1,1] op_sel_hi:[1,1,0]
	v_pk_fma_f32 v[24:25], v[26:27], v[68:69], v[98:99] op_sel:[0,1,1] op_sel_hi:[1,1,0]
	v_mov_b32_e32 v17, v19
	v_pk_fma_f32 v[18:19], v[26:27], v[100:101], v[98:99] op_sel:[0,0,1] op_sel_hi:[1,1,0] neg_lo:[0,0,1] neg_hi:[0,0,1]
	v_mov_b32_e32 v51, v72
	v_mov_b32_e32 v19, v25
	;; [unrolled: 1-line block ×5, first 2 shown]
	v_pk_add_f32 v[24:25], v[72:73], v[18:19]
	v_pk_add_f32 v[26:27], v[72:73], v[18:19] neg_lo:[0,1] neg_hi:[0,1]
	v_pk_add_f32 v[44:45], v[2:3], v[16:17]
	v_pk_add_f32 v[46:47], v[2:3], v[16:17] neg_lo:[0,1] neg_hi:[0,1]
	v_pk_add_f32 v[18:19], v[50:51], v[94:95]
	v_pk_add_f32 v[2:3], v[88:89], v[92:93]
	v_mov_b32_e32 v23, v18
	v_mov_b32_e32 v21, v2
	v_pk_add_f32 v[16:17], v[22:23], v[20:21] neg_lo:[0,1] neg_hi:[0,1]
	v_mov_b32_e32 v70, v45
	v_mov_b32_e32 v71, v20
	;; [unrolled: 1-line block ×4, first 2 shown]
	v_pk_add_f32 v[20:21], v[70:71], v[20:21]
	v_pk_add_f32 v[22:23], v[2:3], v[18:19]
	v_mov_b32_e32 v48, v16
	v_mov_b32_e32 v49, v27
	;; [unrolled: 1-line block ×4, first 2 shown]
	s_mov_b32 s6, 0x3f08b237
	v_mov_b32_e32 v18, v22
	v_mov_b32_e32 v71, v21
	s_mov_b32 s24, 0x3d64c772
	v_pk_add_f32 v[48:49], v[48:49], v[50:51] neg_lo:[0,1] neg_hi:[0,1]
	s_mov_b32 s7, 0xbeae86e6
	v_mov_b32_e32 v50, v26
	v_mov_b32_e32 v68, v16
	;; [unrolled: 1-line block ×3, first 2 shown]
	v_pk_add_f32 v[70:71], v[18:19], v[70:71] neg_lo:[0,1] neg_hi:[0,1]
	v_mov_b32_e32 v72, v25
	v_mov_b32_e32 v73, v21
	;; [unrolled: 1-line block ×3, first 2 shown]
	v_pk_add_f32 v[20:21], v[20:21], v[22:23]
	s_mov_b32 s25, 0x3f4a47b2
	v_pk_mul_f32 v[48:49], v[48:49], s[6:7]
	v_pk_add_f32 v[50:51], v[50:51], v[68:69] neg_lo:[0,1] neg_hi:[0,1]
	s_mov_b32 s20, s7
	s_mov_b32 s21, s6
	v_pk_add_f32 v[16:17], v[16:17], v[46:47]
	v_pk_add_f32 v[72:73], v[72:73], v[2:3] neg_lo:[0,1] neg_hi:[0,1]
	v_pk_add_f32 v[0:1], v[0:1], v[20:21]
	s_mov_b32 s22, 0xbf955555
	v_pk_mul_f32 v[22:23], v[70:71], s[24:25]
	s_mov_b32 s26, s25
	s_mov_b32 s27, s24
	v_pk_mul_f32 v[68:69], v[50:51], s[20:21]
	v_pk_add_f32 v[16:17], v[16:17], v[26:27]
	s_mov_b32 s0, 0xbee1c552
	v_pk_mul_f32 v[70:71], v[72:73], s[26:27]
	v_pk_fma_f32 v[20:21], v[20:21], s[22:23], v[0:1] op_sel_hi:[1,0,1]
	v_pk_fma_f32 v[72:73], v[72:73], s[26:27], v[22:23]
	v_pk_fma_f32 v[50:51], v[50:51], s[20:21], v[48:49]
	v_pk_add_f32 v[72:73], v[72:73], v[20:21]
	v_pk_fma_f32 v[50:51], v[16:17], s[0:1], v[50:51] op_sel_hi:[1,0,1]
	v_accvgpr_read_b32 v44, a3
	v_pk_add_f32 v[74:75], v[72:73], v[50:51]
	v_pk_add_f32 v[50:51], v[72:73], v[50:51] neg_lo:[0,1] neg_hi:[0,1]
	v_mov_b32_e32 v72, v74
	v_mov_b32_e32 v73, v51
	;; [unrolled: 1-line block ×4, first 2 shown]
	s_barrier
	ds_write2_b64 v44, v[0:1], v[72:73] offset1:17
	v_pk_add_f32 v[0:1], v[46:47], v[26:27] neg_lo:[0,1] neg_hi:[0,1]
	s_mov_b32 s16, 0xbf5ff5aa
	v_pk_add_f32 v[2:3], v[2:3], v[18:19] neg_lo:[0,1] neg_hi:[0,1]
	s_mov_b32 s18, 0x3f3bfb3b
	v_mov_b32_e32 v18, v70
	v_mov_b32_e32 v19, v23
	;; [unrolled: 1-line block ×6, first 2 shown]
	v_pk_fma_f32 v[18:19], v[2:3], s[18:19], v[18:19] op_sel_hi:[1,0,1] neg_lo:[1,0,1] neg_hi:[1,0,1]
	v_pk_fma_f32 v[24:25], v[0:1], s[16:17], v[24:25] op_sel_hi:[1,0,1] neg_lo:[1,0,1] neg_hi:[1,0,1]
	;; [unrolled: 1-line block ×4, first 2 shown]
	v_pk_add_f32 v[18:19], v[18:19], v[20:21]
	v_pk_fma_f32 v[24:25], v[16:17], s[0:1], v[24:25] op_sel_hi:[1,0,1]
	v_pk_add_f32 v[2:3], v[2:3], v[20:21]
	v_pk_fma_f32 v[0:1], v[16:17], s[0:1], v[0:1] op_sel_hi:[1,0,1]
	v_pk_add_f32 v[26:27], v[18:19], v[24:25]
	v_pk_add_f32 v[18:19], v[18:19], v[24:25] neg_lo:[0,1] neg_hi:[0,1]
	v_pk_add_f32 v[16:17], v[2:3], v[0:1] neg_lo:[0,1] neg_hi:[0,1]
	v_pk_add_f32 v[0:1], v[2:3], v[0:1]
	v_mov_b32_e32 v66, v40
	v_mov_b32_e32 v67, v40
	v_mov_b32_e32 v40, v41
	v_mov_b32_e32 v64, v42
	v_mov_b32_e32 v65, v42
	v_mov_b32_e32 v42, v43
	v_mov_b32_e32 v58, v36
	v_mov_b32_e32 v59, v36
	v_mov_b32_e32 v36, v37
	v_mov_b32_e32 v56, v34
	v_mov_b32_e32 v57, v34
	v_mov_b32_e32 v34, v35
	v_mov_b32_e32 v54, v28
	v_mov_b32_e32 v55, v28
	v_mov_b32_e32 v28, v29
	v_mov_b32_e32 v52, v30
	v_mov_b32_e32 v53, v30
	v_mov_b32_e32 v30, v31
	v_mov_b32_e32 v24, v26
	v_mov_b32_e32 v25, v19
	v_mov_b32_e32 v2, v16
	v_mov_b32_e32 v3, v1
	v_mov_b32_e32 v1, v17
	v_mov_b32_e32 v19, v27
	v_mov_b32_e32 v51, v75
	ds_write2_b64 v44, v[24:25], v[2:3] offset0:34 offset1:51
	ds_write2_b64 v44, v[0:1], v[18:19] offset0:68 offset1:85
	ds_write_b64 v44, v[50:51] offset:816
	s_and_saveexec_b64 s[28:29], s[2:3]
	s_cbranch_execz .LBB0_21
; %bb.20:
	v_mov_b32_e32 v0, v13
	v_mov_b32_e32 v1, v12
	v_pk_mul_f32 v[44:45], v[0:1], v[76:77]
	v_mov_b32_e32 v2, v15
	v_mov_b32_e32 v3, v14
	v_mov_b32_e32 v22, v77
	v_mov_b32_e32 v44, v45
	v_pk_mul_f32 v[22:23], v[0:1], v[22:23]
	v_pk_fma_f32 v[0:1], v[0:1], v[76:77], v[44:45] neg_lo:[1,0,0] neg_hi:[1,0,0]
	v_pk_mul_f32 v[44:45], v[2:3], v[78:79]
	v_pk_mul_f32 v[18:19], v[10:11], v[62:63] op_sel_hi:[1,0]
	v_mov_b32_e32 v20, v79
	v_mov_b32_e32 v44, v45
	v_pk_mul_f32 v[16:17], v[4:5], v[80:81] op_sel_hi:[1,0]
	v_pk_mul_f32 v[20:21], v[2:3], v[20:21]
	v_pk_fma_f32 v[2:3], v[2:3], v[78:79], v[44:45] neg_lo:[1,0,0] neg_hi:[1,0,0]
	v_pk_fma_f32 v[44:45], v[10:11], v[62:63], v[18:19] op_sel:[0,1,1] op_sel_hi:[1,1,0] neg_lo:[0,0,1] neg_hi:[0,0,1]
	v_pk_fma_f32 v[10:11], v[10:11], v[62:63], v[18:19] op_sel:[0,1,1] op_sel_hi:[1,1,0]
	v_pk_mul_f32 v[26:27], v[8:9], v[60:61] op_sel_hi:[1,0]
	v_mov_b32_e32 v45, v11
	v_pk_fma_f32 v[10:11], v[4:5], v[80:81], v[16:17] op_sel:[0,1,1] op_sel_hi:[1,1,0] neg_lo:[0,0,1] neg_hi:[0,0,1]
	v_pk_fma_f32 v[4:5], v[4:5], v[80:81], v[16:17] op_sel:[0,1,1] op_sel_hi:[1,1,0]
	v_pk_mul_f32 v[24:25], v[6:7], v[82:83] op_sel_hi:[1,0]
	v_mov_b32_e32 v11, v5
	v_pk_fma_f32 v[4:5], v[8:9], v[60:61], v[26:27] op_sel:[0,1,1] op_sel_hi:[1,1,0] neg_lo:[0,0,1] neg_hi:[0,0,1]
	v_pk_fma_f32 v[8:9], v[8:9], v[60:61], v[26:27] op_sel:[0,1,1] op_sel_hi:[1,1,0]
	v_pk_mul_f32 v[14:15], v[14:15], v[78:79]
	v_pk_mul_f32 v[12:13], v[12:13], v[76:77]
	v_mov_b32_e32 v5, v9
	v_pk_fma_f32 v[8:9], v[6:7], v[82:83], v[24:25] op_sel:[0,1,1] op_sel_hi:[1,1,0] neg_lo:[0,0,1] neg_hi:[0,0,1]
	v_pk_fma_f32 v[6:7], v[6:7], v[82:83], v[24:25] op_sel:[0,1,1] op_sel_hi:[1,1,0]
	v_mov_b32_e32 v15, v44
	v_mov_b32_e32 v9, v7
	;; [unrolled: 1-line block ×5, first 2 shown]
	v_mul_u32_u24_e32 v1, 0x77, v145
	v_accvgpr_read_b32 v3, a2
	v_pk_add_f32 v[6:7], v[44:45], v[10:11]
	v_pk_add_f32 v[16:17], v[4:5], v[8:9]
	v_pk_add_f32 v[18:19], v[10:11], v[44:45] neg_lo:[0,1] neg_hi:[0,1]
	v_pk_add_f32 v[24:25], v[8:9], v[4:5] neg_lo:[0,1] neg_hi:[0,1]
	v_pk_add_f32 v[10:11], v[14:15], v[20:21]
	v_pk_add_f32 v[4:5], v[12:13], v[22:23]
	v_add_lshl_u32 v48, v1, v3, 3
	v_mov_b32_e32 v3, v10
	v_mov_b32_e32 v1, v4
	v_pk_add_f32 v[8:9], v[2:3], v[0:1] neg_lo:[0,1] neg_hi:[0,1]
	v_mov_b32_e32 v23, v19
	v_mov_b32_e32 v14, v8
	v_pk_add_f32 v[20:21], v[8:9], v[24:25]
	v_mov_b32_e32 v22, v8
	v_mov_b32_e32 v8, v24
	;; [unrolled: 1-line block ×3, first 2 shown]
	v_pk_add_f32 v[8:9], v[22:23], v[8:9] neg_lo:[0,1] neg_hi:[0,1]
	v_mov_b32_e32 v22, v17
	v_mov_b32_e32 v23, v0
	;; [unrolled: 1-line block ×4, first 2 shown]
	v_pk_add_f32 v[0:1], v[22:23], v[0:1]
	v_pk_add_f32 v[2:3], v[4:5], v[10:11]
	v_mov_b32_e32 v12, v18
	v_pk_add_f32 v[22:23], v[0:1], v[2:3]
	v_mov_b32_e32 v0, v7
	v_mov_b32_e32 v3, v5
	v_pk_add_f32 v[44:45], v[0:1], v[2:3] neg_lo:[0,1] neg_hi:[0,1]
	v_mov_b32_e32 v3, v11
	v_mov_b32_e32 v0, v17
	;; [unrolled: 1-line block ×3, first 2 shown]
	v_pk_add_f32 v[0:1], v[2:3], v[0:1] neg_lo:[0,1] neg_hi:[0,1]
	v_pk_add_f32 v[12:13], v[12:13], v[14:15] neg_lo:[0,1] neg_hi:[0,1]
	v_pk_mul_f32 v[8:9], v[8:9], s[6:7]
	v_pk_add_f32 v[26:27], v[90:91], v[22:23]
	v_pk_mul_f32 v[0:1], v[0:1], s[24:25]
	v_pk_mul_f32 v[14:15], v[12:13], s[20:21]
	v_pk_add_f32 v[20:21], v[20:21], v[18:19]
	v_pk_fma_f32 v[12:13], v[12:13], s[20:21], v[8:9]
	v_pk_fma_f32 v[2:3], v[44:45], s[26:27], v[0:1]
	v_pk_fma_f32 v[22:23], v[22:23], s[22:23], v[26:27] op_sel_hi:[1,0,1]
	v_pk_fma_f32 v[12:13], v[20:21], s[0:1], v[12:13] op_sel_hi:[1,0,1]
	v_pk_add_f32 v[2:3], v[2:3], v[22:23]
	v_pk_mul_f32 v[46:47], v[44:45], s[26:27]
	v_pk_add_f32 v[44:45], v[2:3], v[12:13]
	v_pk_add_f32 v[2:3], v[2:3], v[12:13] neg_lo:[0,1] neg_hi:[0,1]
	v_mov_b32_e32 v12, v44
	v_mov_b32_e32 v13, v3
	v_mov_b32_e32 v4, v17
	v_mov_b32_e32 v10, v7
	ds_write2_b64 v48, v[26:27], v[12:13] offset1:17
	v_pk_add_f32 v[12:13], v[24:25], v[18:19] neg_lo:[0,1] neg_hi:[0,1]
	v_mov_b32_e32 v18, v14
	v_mov_b32_e32 v19, v9
	v_pk_add_f32 v[4:5], v[4:5], v[10:11] neg_lo:[0,1] neg_hi:[0,1]
	v_mov_b32_e32 v6, v46
	v_mov_b32_e32 v7, v1
	;; [unrolled: 1-line block ×4, first 2 shown]
	v_pk_fma_f32 v[18:19], v[12:13], s[16:17], v[18:19] op_sel_hi:[1,0,1] neg_lo:[1,0,1] neg_hi:[1,0,1]
	v_pk_fma_f32 v[6:7], v[4:5], s[18:19], v[6:7] op_sel_hi:[1,0,1] neg_lo:[1,0,1] neg_hi:[1,0,1]
	;; [unrolled: 1-line block ×4, first 2 shown]
	v_pk_fma_f32 v[18:19], v[20:21], s[0:1], v[18:19] op_sel_hi:[1,0,1]
	v_pk_add_f32 v[6:7], v[6:7], v[22:23]
	v_pk_fma_f32 v[8:9], v[20:21], s[0:1], v[8:9] op_sel_hi:[1,0,1]
	v_pk_add_f32 v[0:1], v[0:1], v[22:23]
	v_pk_add_f32 v[10:11], v[6:7], v[18:19]
	v_pk_add_f32 v[6:7], v[6:7], v[18:19] neg_lo:[0,1] neg_hi:[0,1]
	v_pk_add_f32 v[4:5], v[0:1], v[8:9] neg_lo:[0,1] neg_hi:[0,1]
	v_pk_add_f32 v[0:1], v[0:1], v[8:9]
	v_mov_b32_e32 v16, v10
	v_mov_b32_e32 v17, v7
	;; [unrolled: 1-line block ×7, first 2 shown]
	ds_write2_b64 v48, v[16:17], v[8:9] offset0:34 offset1:51
	ds_write2_b64 v48, v[0:1], v[6:7] offset0:68 offset1:85
	ds_write_b64 v48, v[2:3] offset:816
.LBB0_21:
	s_or_b64 exec, exec, s[28:29]
	s_waitcnt lgkmcnt(0)
	s_barrier
	ds_read_b64 v[20:21], v84
	ds_read2_b64 v[4:7], v84 offset0:119 offset1:238
	v_add_u32_e32 v2, 0x800, v84
	ds_read2_b64 v[8:11], v2 offset0:101 offset1:220
	v_add_u32_e32 v1, 0x1000, v84
	ds_read2_b64 v[12:15], v1 offset0:83 offset1:202
	s_waitcnt lgkmcnt(2)
	v_pk_mul_f32 v[22:23], v[40:41], v[4:5]
	v_add_u32_e32 v0, 0x1800, v84
	v_pk_fma_f32 v[24:25], v[66:67], v[4:5], v[22:23] op_sel:[0,0,1] op_sel_hi:[1,1,0]
	v_pk_fma_f32 v[4:5], v[66:67], v[4:5], v[22:23] op_sel:[0,0,1] op_sel_hi:[1,1,0] neg_lo:[0,0,1] neg_hi:[0,0,1]
	v_pk_mul_f32 v[22:23], v[42:43], v[6:7]
	ds_read2_b64 v[16:19], v0 offset0:65 offset1:184
	v_pk_fma_f32 v[26:27], v[64:65], v[6:7], v[22:23] op_sel:[0,0,1] op_sel_hi:[1,1,0]
	v_pk_fma_f32 v[6:7], v[64:65], v[6:7], v[22:23] op_sel:[0,0,1] op_sel_hi:[1,1,0] neg_lo:[0,0,1] neg_hi:[0,0,1]
	s_waitcnt lgkmcnt(2)
	v_pk_mul_f32 v[22:23], v[36:37], v[8:9]
	s_mov_b32 s6, 0x3f248dbb
	v_pk_fma_f32 v[36:37], v[58:59], v[8:9], v[22:23] op_sel:[0,0,1] op_sel_hi:[1,1,0]
	v_pk_fma_f32 v[8:9], v[58:59], v[8:9], v[22:23] op_sel:[0,0,1] op_sel_hi:[1,1,0] neg_lo:[0,0,1] neg_hi:[0,0,1]
	v_mov_b32_e32 v27, v7
	v_mov_b32_e32 v37, v9
	v_pk_mul_f32 v[8:9], v[38:39], v[10:11] op_sel:[1,0]
	v_mov_b32_e32 v6, v7
	v_pk_fma_f32 v[22:23], v[38:39], v[10:11], v[8:9] op_sel:[0,0,1] op_sel_hi:[1,1,0]
	v_pk_fma_f32 v[8:9], v[38:39], v[10:11], v[8:9] op_sel:[0,0,1] op_sel_hi:[0,1,0] neg_lo:[0,0,1] neg_hi:[0,0,1]
	v_mov_b32_e32 v23, v9
	s_waitcnt lgkmcnt(1)
	v_pk_mul_f32 v[8:9], v[32:33], v[12:13] op_sel:[1,0]
	v_mov_b32_e32 v7, v24
	v_pk_fma_f32 v[10:11], v[32:33], v[12:13], v[8:9] op_sel:[0,0,1] op_sel_hi:[1,1,0]
	v_pk_fma_f32 v[8:9], v[32:33], v[12:13], v[8:9] op_sel:[0,0,1] op_sel_hi:[0,1,0] neg_lo:[0,0,1] neg_hi:[0,0,1]
	v_mov_b32_e32 v11, v9
	v_pk_mul_f32 v[8:9], v[34:35], v[14:15]
	s_mov_b32 s7, 0x3f7c1c5c
	v_pk_fma_f32 v[12:13], v[56:57], v[14:15], v[8:9] op_sel:[0,0,1] op_sel_hi:[1,1,0]
	v_pk_fma_f32 v[8:9], v[56:57], v[14:15], v[8:9] op_sel:[0,0,1] op_sel_hi:[1,1,0] neg_lo:[0,0,1] neg_hi:[0,0,1]
	v_mov_b32_e32 v25, v5
	v_mov_b32_e32 v13, v9
	s_waitcnt lgkmcnt(0)
	v_pk_mul_f32 v[8:9], v[28:29], v[16:17]
	v_mov_b32_e32 v4, v5
	v_pk_fma_f32 v[14:15], v[54:55], v[16:17], v[8:9] op_sel:[0,0,1] op_sel_hi:[1,1,0]
	v_pk_fma_f32 v[8:9], v[54:55], v[16:17], v[8:9] op_sel:[0,0,1] op_sel_hi:[1,1,0] neg_lo:[0,0,1] neg_hi:[0,0,1]
	v_pk_mul_f32 v[16:17], v[30:31], v[18:19]
	v_mov_b32_e32 v15, v9
	v_pk_fma_f32 v[28:29], v[52:53], v[18:19], v[16:17] op_sel:[0,0,1] op_sel_hi:[1,1,0]
	v_pk_fma_f32 v[16:17], v[52:53], v[18:19], v[16:17] op_sel:[0,0,1] op_sel_hi:[1,1,0] neg_lo:[0,0,1] neg_hi:[0,0,1]
	v_mov_b32_e32 v8, v9
	v_mov_b32_e32 v9, v28
	v_mov_b32_e32 v29, v17
	v_mov_b32_e32 v5, v26
	v_mov_b32_e32 v16, v17
	v_mov_b32_e32 v17, v14
	v_pk_add_f32 v[6:7], v[6:7], v[8:9] neg_lo:[0,1] neg_hi:[0,1]
	s_mov_b32 s16, s7
	s_mov_b32 s17, s6
	v_pk_add_f32 v[32:33], v[36:37], v[12:13]
	v_pk_add_f32 v[4:5], v[4:5], v[16:17] neg_lo:[0,1] neg_hi:[0,1]
	v_pk_add_f32 v[8:9], v[36:37], v[12:13] neg_lo:[0,1] neg_hi:[0,1]
	s_mov_b32 s0, 0x3f5db3d7
	v_pk_mul_f32 v[12:13], v[6:7], s[16:17]
	v_pk_add_f32 v[18:19], v[24:25], v[28:29]
	v_pk_add_f32 v[30:31], v[26:27], v[14:15]
	v_pk_mul_f32 v[8:9], v[8:9], s[0:1] op_sel_hi:[1,0]
	v_pk_fma_f32 v[12:13], v[4:5], s[6:7], v[12:13]
	v_pk_add_f32 v[14:15], v[22:23], v[10:11] neg_lo:[0,1] neg_hi:[0,1]
	s_mov_b32 s16, 0x3eaf1d44
	v_pk_add_f32 v[34:35], v[30:31], v[18:19]
	v_pk_add_f32 v[12:13], v[8:9], v[12:13] op_sel:[1,0] op_sel_hi:[0,1]
	v_pk_mul_f32 v[16:17], v[14:15], s[16:17] op_sel_hi:[1,0]
	s_mov_b32 s18, 0x3f441b7d
	v_pk_add_f32 v[38:39], v[32:33], v[34:35]
	v_pk_add_f32 v[12:13], v[16:17], v[12:13] op_sel:[1,0] op_sel_hi:[0,1]
	v_pk_fma_f32 v[16:17], v[18:19], s[18:19], v[20:21] op_sel_hi:[1,0,1]
	s_mov_b32 s20, 0x3e31d0d4
	v_pk_add_f32 v[38:39], v[22:23], v[38:39]
	v_pk_fma_f32 v[16:17], v[30:31], s[20:21], v[16:17] op_sel_hi:[1,0,1]
	v_pk_add_f32 v[38:39], v[10:11], v[38:39]
	v_pk_fma_f32 v[16:17], v[32:33], 0.5, v[16:17] op_sel_hi:[1,0,1] neg_lo:[1,0,0] neg_hi:[1,0,0]
	v_pk_add_f32 v[10:11], v[22:23], v[10:11]
	s_mov_b32 s22, 0x3f708fb2
	v_pk_fma_f32 v[16:17], v[10:11], s[22:23], v[16:17] op_sel_hi:[1,0,1] neg_lo:[1,0,0] neg_hi:[1,0,0]
	v_pk_fma_f32 v[26:27], v[10:11], s[18:19], v[20:21] op_sel_hi:[1,0,1]
	v_pk_add_f32 v[22:23], v[16:17], v[12:13] neg_lo:[0,1] neg_hi:[0,1]
	v_pk_add_f32 v[16:17], v[16:17], v[12:13]
	v_pk_fma_f32 v[26:27], v[18:19], s[20:21], v[26:27] op_sel_hi:[1,0,1]
	v_mov_b32_e32 v23, v17
	v_fma_f32 v16, 2.0, v12, v22
	v_fmac_f32_e32 v17, -2.0, v13
	ds_write_b64 v84, v[22:23] offset:952
	v_pk_mul_f32 v[12:13], v[14:15], s[6:7] op_sel_hi:[1,0]
	v_mov_b32_e32 v22, v4
	v_mov_b32_e32 v23, v7
	s_mov_b32 s6, s7
	v_pk_fma_f32 v[12:13], v[22:23], s[6:7], v[12:13] op_sel:[0,0,1] op_sel_hi:[1,0,0] neg_lo:[0,0,1] neg_hi:[0,0,1]
	v_mov_b32_e32 v24, v6
	v_pk_add_f32 v[12:13], v[12:13], v[8:9] op_sel:[0,1] op_sel_hi:[1,0] neg_lo:[0,1] neg_hi:[0,1]
	v_mov_b32_e32 v25, v5
	v_pk_fma_f32 v[26:27], v[32:33], 0.5, v[26:27] op_sel_hi:[1,0,1] neg_lo:[1,0,0] neg_hi:[1,0,0]
	v_pk_fma_f32 v[12:13], v[24:25], s[16:17], v[12:13] op_sel_hi:[1,0,1]
	v_pk_fma_f32 v[26:27], v[30:31], s[22:23], v[26:27] op_sel_hi:[1,0,1] neg_lo:[1,0,0] neg_hi:[1,0,0]
	v_mov_b32_e32 v36, v7
	v_mov_b32_e32 v37, v4
	v_pk_add_f32 v[28:29], v[26:27], v[12:13] neg_lo:[0,1] neg_hi:[0,1]
	v_pk_add_f32 v[26:27], v[26:27], v[12:13]
	v_pk_add_f32 v[36:37], v[14:15], v[36:37]
	v_mov_b32_e32 v4, v5
	v_mov_b32_e32 v5, v6
	v_fma_f32 v26, 2.0, v12, v28
	v_mov_b32_e32 v29, v27
	v_fmac_f32_e32 v27, -2.0, v13
	v_pk_add_f32 v[12:13], v[32:33], v[20:21]
	v_pk_add_f32 v[4:5], v[36:37], v[4:5] neg_lo:[0,1] neg_hi:[0,1]
	v_pk_add_f32 v[6:7], v[10:11], v[34:35]
	v_pk_mul_f32 v[4:5], v[4:5], s[0:1] op_sel_hi:[1,0]
	v_pk_fma_f32 v[6:7], v[6:7], 0.5, v[12:13] op_sel_hi:[1,0,1] neg_lo:[1,0,0] neg_hi:[1,0,0]
	v_add_u32_e32 v3, 0x400, v84
	v_pk_add_f32 v[12:13], v[6:7], v[4:5] op_sel:[0,1] op_sel_hi:[1,0] neg_lo:[0,1] neg_hi:[0,1]
	v_pk_add_f32 v[6:7], v[6:7], v[4:5] op_sel:[0,1] op_sel_hi:[1,0]
	s_mov_b32 s0, 0xbf248dbb
	v_mov_b32_e32 v13, v7
	v_fma_f32 v6, 2.0, v5, v12
	v_fmac_f32_e32 v7, -2.0, v4
	ds_write2_b64 v3, v[28:29], v[12:13] offset0:110 offset1:229
	v_pk_fma_f32 v[4:5], v[30:31], s[18:19], v[20:21] op_sel_hi:[1,0,1]
	v_pk_mul_f32 v[12:13], v[14:15], s[6:7] op_sel_hi:[1,0]
	v_pk_fma_f32 v[4:5], v[10:11], s[20:21], v[4:5] op_sel_hi:[1,0,1]
	v_pk_fma_f32 v[12:13], v[24:25], s[0:1], v[12:13] op_sel:[0,0,1] op_sel_hi:[1,0,0] neg_lo:[0,0,1] neg_hi:[0,0,1]
	v_pk_fma_f32 v[4:5], v[32:33], 0.5, v[4:5] op_sel_hi:[1,0,1] neg_lo:[1,0,0] neg_hi:[1,0,0]
	v_pk_add_f32 v[8:9], v[8:9], v[12:13] op_sel:[1,0] op_sel_hi:[0,1]
	v_pk_fma_f32 v[8:9], v[22:23], s[16:17], v[8:9] op_sel_hi:[1,0,1]
	v_pk_fma_f32 v[4:5], v[18:19], s[22:23], v[4:5] op_sel_hi:[1,0,1] neg_lo:[1,0,0] neg_hi:[1,0,0]
	v_add_u32_e32 v3, 0xc00, v84
	v_pk_add_f32 v[10:11], v[4:5], v[8:9] neg_lo:[0,1] neg_hi:[0,1]
	v_pk_add_f32 v[4:5], v[4:5], v[8:9]
	s_movk_i32 s2, 0x1000
	v_fma_f32 v4, 2.0, v8, v10
	v_mov_b32_e32 v11, v5
	v_fmac_f32_e32 v5, -2.0, v9
	v_pk_add_f32 v[38:39], v[38:39], v[20:21]
	ds_write2_b64 v3, v[10:11], v[4:5] offset0:92 offset1:211
	v_add_u32_e32 v3, 0x1400, v84
	ds_write_b64 v84, v[38:39]
	ds_write2_b64 v3, v[6:7], v[26:27] offset0:74 offset1:193
	ds_write_b64 v84, v[16:17] offset:7616
	s_waitcnt lgkmcnt(0)
	s_barrier
	s_and_b64 exec, exec, s[4:5]
	s_cbranch_execz .LBB0_23
; %bb.22:
	global_load_dwordx2 v[4:5], v84, s[12:13]
	ds_read_b64 v[6:7], v84
	v_accvgpr_read_b32 v18, a0
	v_mad_u64_u32 v[10:11], s[0:1], s10, v18, 0
	v_mad_u64_u32 v[12:13], s[4:5], s8, v144, 0
	v_mov_b32_e32 v14, v11
	s_mov_b32 s0, 0x1e98801f
	v_mov_b32_e32 v16, v13
	v_mad_u64_u32 v[14:15], s[4:5], s11, v18, v[14:15]
	v_mov_b32_e32 v8, s14
	v_mov_b32_e32 v9, s15
	s_mov_b32 s1, 0x3f4e9880
	v_mad_u64_u32 v[16:17], s[4:5], s9, v144, v[16:17]
	v_mov_b32_e32 v11, v14
	v_mov_b32_e32 v13, v16
	v_lshl_add_u64 v[8:9], v[10:11], 3, v[8:9]
	v_lshl_add_u64 v[8:9], v[12:13], 3, v[8:9]
	v_mov_b32_e32 v12, 0x1f8
	s_mul_i32 s3, s9, 0x1f8
	v_mov_b32_e32 v85, 0
	s_waitcnt vmcnt(0) lgkmcnt(0)
	v_mul_f32_e32 v3, v7, v5
	v_mul_f32_e32 v5, v6, v5
	v_fmac_f32_e32 v3, v6, v4
	v_fma_f32 v6, v4, v7, -v5
	v_cvt_f64_f32_e32 v[4:5], v3
	v_cvt_f64_f32_e32 v[6:7], v6
	v_mul_f64 v[4:5], v[4:5], s[0:1]
	v_mul_f64 v[6:7], v[6:7], s[0:1]
	v_cvt_f32_f64_e32 v4, v[4:5]
	v_cvt_f32_f64_e32 v5, v[6:7]
	global_store_dwordx2 v[8:9], v[4:5], off
	global_load_dwordx2 v[10:11], v84, s[12:13] offset:504
	ds_read2_b64 v[4:7], v84 offset0:63 offset1:126
	v_mad_u64_u32 v[8:9], s[4:5], s8, v12, v[8:9]
	v_add_u32_e32 v9, s3, v9
	s_waitcnt vmcnt(0) lgkmcnt(0)
	v_mul_f32_e32 v3, v5, v11
	v_mul_f32_e32 v11, v4, v11
	v_fmac_f32_e32 v3, v4, v10
	v_fma_f32 v10, v10, v5, -v11
	v_cvt_f64_f32_e32 v[4:5], v3
	v_cvt_f64_f32_e32 v[10:11], v10
	v_mul_f64 v[4:5], v[4:5], s[0:1]
	v_mul_f64 v[10:11], v[10:11], s[0:1]
	v_cvt_f32_f64_e32 v4, v[4:5]
	v_cvt_f32_f64_e32 v5, v[10:11]
	global_store_dwordx2 v[8:9], v[4:5], off
	global_load_dwordx2 v[4:5], v84, s[12:13] offset:1008
	v_mad_u64_u32 v[8:9], s[4:5], s8, v12, v[8:9]
	v_add_u32_e32 v9, s3, v9
	s_waitcnt vmcnt(0)
	v_mul_f32_e32 v3, v7, v5
	v_mul_f32_e32 v5, v6, v5
	v_fmac_f32_e32 v3, v6, v4
	v_fma_f32 v6, v4, v7, -v5
	v_cvt_f64_f32_e32 v[4:5], v3
	v_cvt_f64_f32_e32 v[6:7], v6
	v_mul_f64 v[4:5], v[4:5], s[0:1]
	v_mul_f64 v[6:7], v[6:7], s[0:1]
	v_cvt_f32_f64_e32 v4, v[4:5]
	v_cvt_f32_f64_e32 v5, v[6:7]
	global_store_dwordx2 v[8:9], v[4:5], off
	global_load_dwordx2 v[10:11], v84, s[12:13] offset:1512
	ds_read2_b64 v[4:7], v84 offset0:189 offset1:252
	v_mad_u64_u32 v[8:9], s[4:5], s8, v12, v[8:9]
	v_add_u32_e32 v9, s3, v9
	s_waitcnt vmcnt(0) lgkmcnt(0)
	v_mul_f32_e32 v3, v5, v11
	v_mul_f32_e32 v11, v4, v11
	v_fmac_f32_e32 v3, v4, v10
	v_fma_f32 v10, v10, v5, -v11
	v_cvt_f64_f32_e32 v[4:5], v3
	v_cvt_f64_f32_e32 v[10:11], v10
	v_mul_f64 v[4:5], v[4:5], s[0:1]
	v_mul_f64 v[10:11], v[10:11], s[0:1]
	v_cvt_f32_f64_e32 v4, v[4:5]
	v_cvt_f32_f64_e32 v5, v[10:11]
	global_store_dwordx2 v[8:9], v[4:5], off
	global_load_dwordx2 v[4:5], v84, s[12:13] offset:2016
	v_mad_u64_u32 v[8:9], s[4:5], s8, v12, v[8:9]
	v_add_u32_e32 v9, s3, v9
	s_waitcnt vmcnt(0)
	;; [unrolled: 31-line block ×3, first 2 shown]
	v_mul_f32_e32 v3, v7, v5
	v_mul_f32_e32 v5, v6, v5
	v_fmac_f32_e32 v3, v6, v4
	v_fma_f32 v6, v4, v7, -v5
	v_cvt_f64_f32_e32 v[4:5], v3
	v_cvt_f64_f32_e32 v[6:7], v6
	v_mul_f64 v[4:5], v[4:5], s[0:1]
	v_mul_f64 v[6:7], v[6:7], s[0:1]
	v_cvt_f32_f64_e32 v4, v[4:5]
	v_cvt_f32_f64_e32 v5, v[6:7]
	global_store_dwordx2 v[8:9], v[4:5], off
	global_load_dwordx2 v[6:7], v84, s[12:13] offset:3528
	ds_read2_b64 v[2:5], v2 offset0:185 offset1:248
	v_mad_u64_u32 v[8:9], s[4:5], s8, v12, v[8:9]
	v_add_u32_e32 v9, s3, v9
	s_waitcnt vmcnt(0) lgkmcnt(0)
	v_mul_f32_e32 v10, v3, v7
	v_mul_f32_e32 v7, v2, v7
	v_fmac_f32_e32 v10, v2, v6
	v_fma_f32 v6, v6, v3, -v7
	v_cvt_f64_f32_e32 v[2:3], v10
	v_cvt_f64_f32_e32 v[6:7], v6
	v_mul_f64 v[2:3], v[2:3], s[0:1]
	v_mul_f64 v[6:7], v[6:7], s[0:1]
	v_cvt_f32_f64_e32 v2, v[2:3]
	v_cvt_f32_f64_e32 v3, v[6:7]
	global_store_dwordx2 v[8:9], v[2:3], off
	global_load_dwordx2 v[2:3], v84, s[12:13] offset:4032
	v_lshl_add_u64 v[6:7], s[12:13], 0, v[84:85]
	v_mad_u64_u32 v[8:9], s[4:5], s8, v12, v[8:9]
	v_add_co_u32_e32 v6, vcc, s2, v6
	v_add_u32_e32 v9, s3, v9
	s_nop 0
	v_addc_co_u32_e32 v7, vcc, 0, v7, vcc
	s_waitcnt vmcnt(0)
	v_mul_f32_e32 v10, v5, v3
	v_mul_f32_e32 v3, v4, v3
	v_fmac_f32_e32 v10, v4, v2
	v_fma_f32 v4, v2, v5, -v3
	v_cvt_f64_f32_e32 v[2:3], v10
	v_cvt_f64_f32_e32 v[4:5], v4
	v_mul_f64 v[2:3], v[2:3], s[0:1]
	v_mul_f64 v[4:5], v[4:5], s[0:1]
	v_cvt_f32_f64_e32 v2, v[2:3]
	v_cvt_f32_f64_e32 v3, v[4:5]
	global_store_dwordx2 v[8:9], v[2:3], off
	global_load_dwordx2 v[10:11], v[6:7], off offset:440
	ds_read2_b64 v[2:5], v1 offset0:55 offset1:118
	v_mad_u64_u32 v[8:9], s[4:5], s8, v12, v[8:9]
	v_add_u32_e32 v9, s3, v9
	s_waitcnt vmcnt(0) lgkmcnt(0)
	v_mul_f32_e32 v13, v3, v11
	v_mul_f32_e32 v11, v2, v11
	v_fmac_f32_e32 v13, v2, v10
	v_fma_f32 v10, v10, v3, -v11
	v_cvt_f64_f32_e32 v[2:3], v13
	v_cvt_f64_f32_e32 v[10:11], v10
	v_mul_f64 v[2:3], v[2:3], s[0:1]
	v_mul_f64 v[10:11], v[10:11], s[0:1]
	v_cvt_f32_f64_e32 v2, v[2:3]
	v_cvt_f32_f64_e32 v3, v[10:11]
	global_store_dwordx2 v[8:9], v[2:3], off
	global_load_dwordx2 v[2:3], v[6:7], off offset:944
	v_mad_u64_u32 v[8:9], s[4:5], s8, v12, v[8:9]
	v_add_u32_e32 v9, s3, v9
	s_waitcnt vmcnt(0)
	v_mul_f32_e32 v10, v5, v3
	v_mul_f32_e32 v3, v4, v3
	v_fmac_f32_e32 v10, v4, v2
	v_fma_f32 v4, v2, v5, -v3
	v_cvt_f64_f32_e32 v[2:3], v10
	v_cvt_f64_f32_e32 v[4:5], v4
	v_mul_f64 v[2:3], v[2:3], s[0:1]
	v_mul_f64 v[4:5], v[4:5], s[0:1]
	v_cvt_f32_f64_e32 v2, v[2:3]
	v_cvt_f32_f64_e32 v3, v[4:5]
	global_store_dwordx2 v[8:9], v[2:3], off
	global_load_dwordx2 v[10:11], v[6:7], off offset:1448
	ds_read2_b64 v[2:5], v1 offset0:181 offset1:244
	v_mad_u64_u32 v[8:9], s[4:5], s8, v12, v[8:9]
	v_add_u32_e32 v9, s3, v9
	s_waitcnt vmcnt(0) lgkmcnt(0)
	v_mul_f32_e32 v1, v3, v11
	v_mul_f32_e32 v11, v2, v11
	v_fmac_f32_e32 v1, v2, v10
	v_fma_f32 v10, v10, v3, -v11
	v_cvt_f64_f32_e32 v[2:3], v1
	v_cvt_f64_f32_e32 v[10:11], v10
	v_mul_f64 v[2:3], v[2:3], s[0:1]
	v_mul_f64 v[10:11], v[10:11], s[0:1]
	v_cvt_f32_f64_e32 v2, v[2:3]
	v_cvt_f32_f64_e32 v3, v[10:11]
	global_store_dwordx2 v[8:9], v[2:3], off
	global_load_dwordx2 v[2:3], v[6:7], off offset:1952
	v_mad_u64_u32 v[8:9], s[4:5], s8, v12, v[8:9]
	v_add_u32_e32 v9, s3, v9
	;; [unrolled: 31-line block ×4, first 2 shown]
	s_waitcnt vmcnt(0)
	v_mul_f32_e32 v6, v3, v1
	v_mul_f32_e32 v1, v2, v1
	v_fmac_f32_e32 v6, v2, v0
	v_fma_f32 v2, v0, v3, -v1
	v_cvt_f64_f32_e32 v[0:1], v6
	v_cvt_f64_f32_e32 v[2:3], v2
	v_mul_f64 v[0:1], v[0:1], s[0:1]
	v_mul_f64 v[2:3], v[2:3], s[0:1]
	v_cvt_f32_f64_e32 v0, v[0:1]
	v_cvt_f32_f64_e32 v1, v[2:3]
	global_store_dwordx2 v[4:5], v[0:1], off
.LBB0_23:
	s_endpgm
	.section	.rodata,"a",@progbits
	.p2align	6, 0x0
	.amdhsa_kernel bluestein_single_fwd_len1071_dim1_sp_op_CI_CI
		.amdhsa_group_segment_fixed_size 8568
		.amdhsa_private_segment_fixed_size 0
		.amdhsa_kernarg_size 104
		.amdhsa_user_sgpr_count 2
		.amdhsa_user_sgpr_dispatch_ptr 0
		.amdhsa_user_sgpr_queue_ptr 0
		.amdhsa_user_sgpr_kernarg_segment_ptr 1
		.amdhsa_user_sgpr_dispatch_id 0
		.amdhsa_user_sgpr_kernarg_preload_length 0
		.amdhsa_user_sgpr_kernarg_preload_offset 0
		.amdhsa_user_sgpr_private_segment_size 0
		.amdhsa_uses_dynamic_stack 0
		.amdhsa_enable_private_segment 0
		.amdhsa_system_sgpr_workgroup_id_x 1
		.amdhsa_system_sgpr_workgroup_id_y 0
		.amdhsa_system_sgpr_workgroup_id_z 0
		.amdhsa_system_sgpr_workgroup_info 0
		.amdhsa_system_vgpr_workitem_id 0
		.amdhsa_next_free_vgpr 294
		.amdhsa_next_free_sgpr 62
		.amdhsa_accum_offset 256
		.amdhsa_reserve_vcc 1
		.amdhsa_float_round_mode_32 0
		.amdhsa_float_round_mode_16_64 0
		.amdhsa_float_denorm_mode_32 3
		.amdhsa_float_denorm_mode_16_64 3
		.amdhsa_dx10_clamp 1
		.amdhsa_ieee_mode 1
		.amdhsa_fp16_overflow 0
		.amdhsa_tg_split 0
		.amdhsa_exception_fp_ieee_invalid_op 0
		.amdhsa_exception_fp_denorm_src 0
		.amdhsa_exception_fp_ieee_div_zero 0
		.amdhsa_exception_fp_ieee_overflow 0
		.amdhsa_exception_fp_ieee_underflow 0
		.amdhsa_exception_fp_ieee_inexact 0
		.amdhsa_exception_int_div_zero 0
	.end_amdhsa_kernel
	.text
.Lfunc_end0:
	.size	bluestein_single_fwd_len1071_dim1_sp_op_CI_CI, .Lfunc_end0-bluestein_single_fwd_len1071_dim1_sp_op_CI_CI
                                        ; -- End function
	.section	.AMDGPU.csdata,"",@progbits
; Kernel info:
; codeLenInByte = 18964
; NumSgprs: 68
; NumVgprs: 256
; NumAgprs: 38
; TotalNumVgprs: 294
; ScratchSize: 0
; MemoryBound: 0
; FloatMode: 240
; IeeeMode: 1
; LDSByteSize: 8568 bytes/workgroup (compile time only)
; SGPRBlocks: 8
; VGPRBlocks: 36
; NumSGPRsForWavesPerEU: 68
; NumVGPRsForWavesPerEU: 294
; AccumOffset: 256
; Occupancy: 1
; WaveLimiterHint : 1
; COMPUTE_PGM_RSRC2:SCRATCH_EN: 0
; COMPUTE_PGM_RSRC2:USER_SGPR: 2
; COMPUTE_PGM_RSRC2:TRAP_HANDLER: 0
; COMPUTE_PGM_RSRC2:TGID_X_EN: 1
; COMPUTE_PGM_RSRC2:TGID_Y_EN: 0
; COMPUTE_PGM_RSRC2:TGID_Z_EN: 0
; COMPUTE_PGM_RSRC2:TIDIG_COMP_CNT: 0
; COMPUTE_PGM_RSRC3_GFX90A:ACCUM_OFFSET: 63
; COMPUTE_PGM_RSRC3_GFX90A:TG_SPLIT: 0
	.text
	.p2alignl 6, 3212836864
	.fill 256, 4, 3212836864
	.type	__hip_cuid_a5f57351c0f78d1,@object ; @__hip_cuid_a5f57351c0f78d1
	.section	.bss,"aw",@nobits
	.globl	__hip_cuid_a5f57351c0f78d1
__hip_cuid_a5f57351c0f78d1:
	.byte	0                               ; 0x0
	.size	__hip_cuid_a5f57351c0f78d1, 1

	.ident	"AMD clang version 19.0.0git (https://github.com/RadeonOpenCompute/llvm-project roc-6.4.0 25133 c7fe45cf4b819c5991fe208aaa96edf142730f1d)"
	.section	".note.GNU-stack","",@progbits
	.addrsig
	.addrsig_sym __hip_cuid_a5f57351c0f78d1
	.amdgpu_metadata
---
amdhsa.kernels:
  - .agpr_count:     38
    .args:
      - .actual_access:  read_only
        .address_space:  global
        .offset:         0
        .size:           8
        .value_kind:     global_buffer
      - .actual_access:  read_only
        .address_space:  global
        .offset:         8
        .size:           8
        .value_kind:     global_buffer
      - .actual_access:  read_only
        .address_space:  global
        .offset:         16
        .size:           8
        .value_kind:     global_buffer
      - .actual_access:  read_only
        .address_space:  global
        .offset:         24
        .size:           8
        .value_kind:     global_buffer
      - .actual_access:  read_only
        .address_space:  global
        .offset:         32
        .size:           8
        .value_kind:     global_buffer
      - .offset:         40
        .size:           8
        .value_kind:     by_value
      - .address_space:  global
        .offset:         48
        .size:           8
        .value_kind:     global_buffer
      - .address_space:  global
        .offset:         56
        .size:           8
        .value_kind:     global_buffer
      - .address_space:  global
        .offset:         64
        .size:           8
        .value_kind:     global_buffer
      - .address_space:  global
        .offset:         72
        .size:           8
        .value_kind:     global_buffer
      - .offset:         80
        .size:           4
        .value_kind:     by_value
      - .address_space:  global
        .offset:         88
        .size:           8
        .value_kind:     global_buffer
      - .address_space:  global
        .offset:         96
        .size:           8
        .value_kind:     global_buffer
    .group_segment_fixed_size: 8568
    .kernarg_segment_align: 8
    .kernarg_segment_size: 104
    .language:       OpenCL C
    .language_version:
      - 2
      - 0
    .max_flat_workgroup_size: 119
    .name:           bluestein_single_fwd_len1071_dim1_sp_op_CI_CI
    .private_segment_fixed_size: 0
    .sgpr_count:     68
    .sgpr_spill_count: 0
    .symbol:         bluestein_single_fwd_len1071_dim1_sp_op_CI_CI.kd
    .uniform_work_group_size: 1
    .uses_dynamic_stack: false
    .vgpr_count:     294
    .vgpr_spill_count: 0
    .wavefront_size: 64
amdhsa.target:   amdgcn-amd-amdhsa--gfx950
amdhsa.version:
  - 1
  - 2
...

	.end_amdgpu_metadata
